;; amdgpu-corpus repo=ROCm/rocFFT kind=compiled arch=gfx1030 opt=O3
	.text
	.amdgcn_target "amdgcn-amd-amdhsa--gfx1030"
	.amdhsa_code_object_version 6
	.protected	bluestein_single_back_len819_dim1_half_op_CI_CI ; -- Begin function bluestein_single_back_len819_dim1_half_op_CI_CI
	.globl	bluestein_single_back_len819_dim1_half_op_CI_CI
	.p2align	8
	.type	bluestein_single_back_len819_dim1_half_op_CI_CI,@function
bluestein_single_back_len819_dim1_half_op_CI_CI: ; @bluestein_single_back_len819_dim1_half_op_CI_CI
; %bb.0:
	s_load_dwordx4 s[0:3], s[4:5], 0x28
	v_mul_u32_u24_e32 v1, 0x231, v0
	v_mov_b32_e32 v17, 0
	v_lshrrev_b32_e32 v1, 16, v1
	v_add_nc_u32_e32 v16, s6, v1
	s_waitcnt lgkmcnt(0)
	v_cmp_gt_u64_e32 vcc_lo, s[0:1], v[16:17]
	s_and_saveexec_b32 s0, vcc_lo
	s_cbranch_execz .LBB0_23
; %bb.1:
	s_clause 0x1
	s_load_dwordx2 s[10:11], s[4:5], 0x0
	s_load_dwordx2 s[8:9], s[4:5], 0x38
	v_mul_lo_u16 v1, 0x75, v1
	v_sub_nc_u16 v0, v0, v1
	v_and_b32_e32 v32, 0xffff, v0
	v_cmp_gt_u16_e32 vcc_lo, 0x5b, v0
	v_lshlrev_b32_e32 v31, 2, v32
	s_and_saveexec_b32 s1, vcc_lo
	s_cbranch_execz .LBB0_3
; %bb.2:
	s_load_dwordx2 s[6:7], s[4:5], 0x18
	v_add_nc_u32_e32 v23, 0x200, v31
	s_waitcnt lgkmcnt(0)
	s_load_dwordx4 s[12:15], s[6:7], 0x0
	s_waitcnt lgkmcnt(0)
	v_mad_u64_u32 v[0:1], null, s14, v16, 0
	v_mad_u64_u32 v[2:3], null, s12, v32, 0
	s_mul_i32 s6, s13, 0x16c
	s_mul_hi_u32 s7, s12, 0x16c
	s_add_i32 s7, s7, s6
	v_mad_u64_u32 v[4:5], null, s15, v16, v[1:2]
	v_mad_u64_u32 v[5:6], null, s13, v32, v[3:4]
	v_mov_b32_e32 v1, v4
	v_add_co_u32 v4, s0, s10, v31
	v_lshlrev_b64 v[0:1], 2, v[0:1]
	v_mov_b32_e32 v3, v5
	v_add_co_ci_u32_e64 v5, null, s11, 0, s0
	v_lshlrev_b64 v[2:3], 2, v[2:3]
	v_add_co_u32 v0, s0, s2, v0
	v_add_co_ci_u32_e64 v1, s0, s3, v1, s0
	s_mul_i32 s2, s12, 0x16c
	v_add_co_u32 v0, s0, v0, v2
	v_add_co_ci_u32_e64 v1, s0, v1, v3, s0
	v_add_co_u32 v2, s0, v0, s2
	v_add_co_ci_u32_e64 v3, s0, s7, v1, s0
	global_load_dword v6, v[0:1], off
	v_add_co_u32 v0, s0, v2, s2
	v_add_co_ci_u32_e64 v1, s0, s7, v3, s0
	s_clause 0x5
	global_load_dword v7, v31, s[10:11]
	global_load_dword v8, v31, s[10:11] offset:364
	global_load_dword v9, v31, s[10:11] offset:728
	;; [unrolled: 1-line block ×5, first 2 shown]
	s_clause 0x1
	global_load_dword v13, v[2:3], off
	global_load_dword v14, v[0:1], off
	v_add_co_u32 v0, s0, v0, s2
	v_add_co_ci_u32_e64 v1, s0, s7, v1, s0
	v_add_co_u32 v2, s0, 0x800, v4
	v_add_co_ci_u32_e64 v3, s0, 0, v5, s0
	;; [unrolled: 2-line block ×3, first 2 shown]
	s_clause 0x1
	global_load_dword v15, v[0:1], off
	global_load_dword v17, v[4:5], off
	v_add_co_u32 v0, s0, v4, s2
	v_add_co_ci_u32_e64 v1, s0, s7, v5, s0
	v_add_co_u32 v4, s0, v0, s2
	v_add_co_ci_u32_e64 v5, s0, s7, v1, s0
	global_load_dword v18, v[0:1], off
	v_add_co_u32 v0, s0, v4, s2
	v_add_co_ci_u32_e64 v1, s0, s7, v5, s0
	global_load_dword v19, v[4:5], off
	v_add_co_u32 v4, s0, v0, s2
	v_add_co_ci_u32_e64 v5, s0, s7, v1, s0
	global_load_dword v20, v[2:3], off offset:136
	global_load_dword v0, v[0:1], off
	global_load_dword v1, v[4:5], off
	s_clause 0x1
	global_load_dword v4, v[2:3], off offset:500
	global_load_dword v2, v[2:3], off offset:864
	s_waitcnt vmcnt(17)
	v_lshrrev_b32_e32 v3, 16, v6
	s_waitcnt vmcnt(16)
	v_mul_f16_sdwa v5, v7, v6 dst_sel:DWORD dst_unused:UNUSED_PAD src0_sel:WORD_1 src1_sel:DWORD
	s_waitcnt vmcnt(10)
	v_lshrrev_b32_e32 v22, 16, v13
	v_mul_f16_sdwa v21, v7, v3 dst_sel:DWORD dst_unused:UNUSED_PAD src0_sel:WORD_1 src1_sel:DWORD
	v_mul_f16_sdwa v24, v8, v13 dst_sel:DWORD dst_unused:UNUSED_PAD src0_sel:WORD_1 src1_sel:DWORD
	v_fma_f16 v3, v7, v3, -v5
	v_mul_f16_sdwa v5, v8, v22 dst_sel:DWORD dst_unused:UNUSED_PAD src0_sel:WORD_1 src1_sel:DWORD
	v_fmac_f16_e32 v21, v7, v6
	s_waitcnt vmcnt(9)
	v_lshrrev_b32_e32 v6, 16, v14
	v_fma_f16 v7, v8, v22, -v24
	v_mul_f16_sdwa v22, v9, v14 dst_sel:DWORD dst_unused:UNUSED_PAD src0_sel:WORD_1 src1_sel:DWORD
	v_fmac_f16_e32 v5, v8, v13
	v_pack_b32_f16 v3, v21, v3
	v_mul_f16_sdwa v8, v9, v6 dst_sel:DWORD dst_unused:UNUSED_PAD src0_sel:WORD_1 src1_sel:DWORD
	s_waitcnt vmcnt(8)
	v_lshrrev_b32_e32 v13, 16, v15
	v_fma_f16 v6, v9, v6, -v22
	v_mul_f16_sdwa v21, v10, v15 dst_sel:DWORD dst_unused:UNUSED_PAD src0_sel:WORD_1 src1_sel:DWORD
	v_pack_b32_f16 v5, v5, v7
	v_fmac_f16_e32 v8, v9, v14
	v_mul_f16_sdwa v7, v10, v13 dst_sel:DWORD dst_unused:UNUSED_PAD src0_sel:WORD_1 src1_sel:DWORD
	s_waitcnt vmcnt(7)
	v_lshrrev_b32_e32 v9, 16, v17
	v_fma_f16 v13, v10, v13, -v21
	v_mul_f16_sdwa v14, v11, v17 dst_sel:DWORD dst_unused:UNUSED_PAD src0_sel:WORD_1 src1_sel:DWORD
	v_pack_b32_f16 v6, v8, v6
	v_fmac_f16_e32 v7, v10, v15
	v_mul_f16_sdwa v8, v11, v9 dst_sel:DWORD dst_unused:UNUSED_PAD src0_sel:WORD_1 src1_sel:DWORD
	s_waitcnt vmcnt(6)
	v_lshrrev_b32_e32 v10, 16, v18
	v_fma_f16 v9, v11, v9, -v14
	v_mul_f16_sdwa v14, v12, v18 dst_sel:DWORD dst_unused:UNUSED_PAD src0_sel:WORD_1 src1_sel:DWORD
	v_fmac_f16_e32 v8, v11, v17
	v_pack_b32_f16 v7, v7, v13
	v_mul_f16_sdwa v11, v12, v10 dst_sel:DWORD dst_unused:UNUSED_PAD src0_sel:WORD_1 src1_sel:DWORD
	s_waitcnt vmcnt(5)
	v_lshrrev_b32_e32 v13, 16, v19
	v_fma_f16 v10, v12, v10, -v14
	s_waitcnt vmcnt(4)
	v_mul_f16_sdwa v14, v20, v19 dst_sel:DWORD dst_unused:UNUSED_PAD src0_sel:WORD_1 src1_sel:DWORD
	s_waitcnt vmcnt(2)
	v_lshrrev_b32_e32 v15, 16, v1
	v_fmac_f16_e32 v11, v12, v18
	v_lshrrev_b32_e32 v12, 16, v0
	v_pack_b32_f16 v8, v8, v9
	v_mul_f16_sdwa v9, v20, v13 dst_sel:DWORD dst_unused:UNUSED_PAD src0_sel:WORD_1 src1_sel:DWORD
	v_fma_f16 v13, v20, v13, -v14
	s_waitcnt vmcnt(1)
	v_mul_f16_sdwa v14, v4, v0 dst_sel:DWORD dst_unused:UNUSED_PAD src0_sel:WORD_1 src1_sel:DWORD
	v_pack_b32_f16 v10, v11, v10
	v_mul_f16_sdwa v11, v4, v12 dst_sel:DWORD dst_unused:UNUSED_PAD src0_sel:WORD_1 src1_sel:DWORD
	s_waitcnt vmcnt(0)
	v_mul_f16_sdwa v17, v2, v15 dst_sel:DWORD dst_unused:UNUSED_PAD src0_sel:WORD_1 src1_sel:DWORD
	v_mul_f16_sdwa v18, v2, v1 dst_sel:DWORD dst_unused:UNUSED_PAD src0_sel:WORD_1 src1_sel:DWORD
	v_fmac_f16_e32 v9, v20, v19
	v_fma_f16 v12, v4, v12, -v14
	v_fmac_f16_e32 v11, v4, v0
	v_fmac_f16_e32 v17, v2, v1
	v_fma_f16 v0, v2, v15, -v18
	v_add_nc_u32_e32 v1, 0x400, v31
	v_pack_b32_f16 v2, v9, v13
	v_pack_b32_f16 v4, v11, v12
	v_add_nc_u32_e32 v9, 0x800, v31
	v_pack_b32_f16 v0, v17, v0
	ds_write2_b32 v31, v3, v5 offset1:91
	ds_write2_b32 v23, v6, v7 offset0:54 offset1:145
	ds_write2_b32 v1, v8, v10 offset0:108 offset1:199
	;; [unrolled: 1-line block ×3, first 2 shown]
	ds_write_b32 v31, v0 offset:2912
.LBB0_3:
	s_or_b32 exec_lo, exec_lo, s1
	s_clause 0x1
	s_load_dwordx2 s[0:1], s[4:5], 0x20
	s_load_dwordx2 s[2:3], s[4:5], 0x8
	v_mov_b32_e32 v1, 0
	v_mov_b32_e32 v4, 0
	;; [unrolled: 1-line block ×4, first 2 shown]
	s_waitcnt lgkmcnt(0)
	s_barrier
	buffer_gl0_inv
                                        ; implicit-def: $vgpr7
                                        ; implicit-def: $vgpr8
	s_and_saveexec_b32 s4, vcc_lo
	s_cbranch_execz .LBB0_5
; %bb.4:
	v_add_nc_u32_e32 v2, 0x400, v31
	v_add_nc_u32_e32 v4, 0x800, v31
	;; [unrolled: 1-line block ×3, first 2 shown]
	ds_read2_b32 v[0:1], v31 offset1:91
	ds_read2_b32 v[2:3], v2 offset0:108 offset1:199
	ds_read2_b32 v[6:7], v4 offset0:34 offset1:125
	ds_read_b32 v8, v31 offset:2912
	ds_read2_b32 v[4:5], v5 offset0:54 offset1:145
.LBB0_5:
	s_or_b32 exec_lo, exec_lo, s4
	s_waitcnt lgkmcnt(0)
	v_alignbit_b32 v9, v4, v1, 16
	v_alignbit_b32 v10, v7, v8, 16
	;; [unrolled: 1-line block ×4, first 2 shown]
	v_pk_add_f16 v8, v8, v1
	v_pk_add_f16 v13, v5, v6 neg_lo:[0,1] neg_hi:[0,1]
	v_pk_add_f16 v9, v9, v10 neg_lo:[0,1] neg_hi:[0,1]
	v_pk_add_f16 v7, v7, v4
	v_pk_add_f16 v1, v11, v12 neg_lo:[0,1] neg_hi:[0,1]
	v_pk_add_f16 v4, v2, v3 neg_lo:[0,1] neg_hi:[0,1]
	v_pk_add_f16 v10, v3, v2
	v_pk_mul_f16 v12, 0x3aee, v13 op_sel_hi:[0,1]
	v_pk_mul_f16 v11, 0x3be13924, v9
	v_pk_fma_f16 v13, 0x3a21, v8, v0 op_sel_hi:[0,1,1]
	v_pk_mul_f16 v14, 0x3924, v4 op_sel_hi:[0,1]
	v_bfi_b32 v15, 0xffff, v9, v1
	v_pk_fma_f16 v18, 0x3a21, v10, v0 op_sel_hi:[0,1,1]
	v_pk_fma_f16 v17, 0x39243be1, v1, v11
	v_pk_add_f16 v11, v6, v5
	v_pk_fma_f16 v5, 0x318f, v7, v13 op_sel_hi:[0,1,1]
	v_pk_fma_f16 v6, 0x3be1, v15, v14 op_sel:[0,0,1] op_sel_hi:[0,1,0] neg_lo:[0,0,1] neg_hi:[0,0,1]
	v_pk_fma_f16 v14, 0x318f, v8, v18 op_sel_hi:[0,1,1]
	v_pk_add_f16 v13, v17, v12 op_sel:[0,1] op_sel_hi:[1,0]
	v_pk_mul_f16 v15, 0x3579, v4 op_sel_hi:[0,1]
	v_pk_fma_f16 v5, v11, 0.5, v5 op_sel_hi:[1,0,1] neg_lo:[1,0,0] neg_hi:[1,0,0]
	v_pk_add_f16 v6, v6, v12 op_sel:[0,1] op_sel_hi:[1,0] neg_lo:[0,1] neg_hi:[0,1]
	v_bfi_b32 v17, 0xffff, v1, v9
	v_pk_fma_f16 v14, v11, 0.5, v14 op_sel_hi:[1,0,1] neg_lo:[1,0,0] neg_hi:[1,0,0]
	v_pk_add_f16 v15, v13, v15 op_sel:[0,1] op_sel_hi:[1,0]
	v_pk_fma_f16 v5, 0x3b84, v10, v5 op_sel_hi:[0,1,1] neg_lo:[0,1,0] neg_hi:[0,1,0]
	v_mul_lo_u16 v33, v32, 9
	v_pk_fma_f16 v17, 0x3579, v17, v6 op_sel_hi:[0,1,1]
	v_pk_fma_f16 v6, 0x3b84, v7, v14 op_sel_hi:[0,1,1] neg_lo:[0,1,0] neg_hi:[0,1,0]
	v_lshrrev_b32_e32 v18, 16, v15
	v_pk_add_f16 v13, v5, v15 neg_lo:[0,1] neg_hi:[0,1]
	v_pk_add_f16 v14, v5, v15
	v_lshrrev_b32_e32 v19, 16, v17
	v_pk_add_f16 v5, v6, v17 neg_lo:[0,1] neg_hi:[0,1]
	v_pk_add_f16 v6, v6, v17
	v_lshrrev_b32_e32 v50, 16, v13
	v_fma_f16 v21, -2.0, v15, v14
	v_lshrrev_b32_e32 v51, 16, v5
	v_fma_f16 v24, -2.0, v17, v6
	v_fmac_f16_e32 v50, 2.0, v18
	s_barrier
	buffer_gl0_inv
	v_fmac_f16_e32 v51, 2.0, v19
	s_and_saveexec_b32 s4, vcc_lo
	s_cbranch_execz .LBB0_7
; %bb.6:
	v_mov_b32_e32 v15, 0x3be1
	v_fmamk_f16 v17, v7, 0x3a21, v0
	v_lshrrev_b32_e32 v19, 16, v7
	v_lshrrev_b32_e32 v20, 16, v0
	v_pk_mul_f16 v18, v11, 0.5 op_sel_hi:[1,0]
	v_mul_f16_sdwa v15, v4, v15 dst_sel:DWORD dst_unused:UNUSED_PAD src0_sel:WORD_1 src1_sel:DWORD
	v_fmac_f16_e32 v17, 0x318f, v10
	v_lshrrev_b32_e32 v22, 16, v9
	v_fmac_f16_e32 v20, 0x3a21, v19
	v_lshrrev_b32_e32 v19, 16, v10
	v_fma_f16 v15, v1, 0xb924, -v15
	v_mul_f16_e32 v23, 0x3be1, v4
	v_sub_f16_e32 v17, v17, v18
	v_pk_add_f16 v7, v8, v7
	v_fmac_f16_e32 v20, 0x318f, v19
	v_add_f16_sdwa v15, v12, v15 dst_sel:DWORD dst_unused:UNUSED_PAD src0_sel:WORD_1 src1_sel:DWORD
	v_fma_f16 v23, v22, 0xb924, -v23
	v_fmac_f16_e32 v17, 0xbb84, v8
	v_lshrrev_b32_e32 v19, 16, v1
	v_sub_f16_sdwa v18, v20, v18 dst_sel:DWORD dst_unused:UNUSED_PAD src0_sel:DWORD src1_sel:WORD_1
	v_lshrrev_b32_e32 v20, 16, v8
	v_fmac_f16_e32 v15, 0x3579, v9
	v_add_f16_sdwa v8, v9, v4 dst_sel:DWORD dst_unused:UNUSED_PAD src0_sel:DWORD src1_sel:WORD_1
	v_pk_add_f16 v9, v0, v11
	v_pk_add_f16 v10, v7, v10
	v_add_f16_e32 v12, v12, v23
	v_add_f16_e32 v4, v19, v4
	v_sub_f16_e32 v1, v8, v1
	v_pk_add_f16 v7, v7, v11
	v_lshrrev_b32_e32 v8, 16, v9
	v_lshrrev_b32_e32 v11, 16, v10
	v_fmac_f16_e32 v12, 0x3579, v19
	v_fmac_f16_e32 v18, 0xbb84, v20
	v_sub_f16_e32 v4, v4, v22
	v_pk_add_f16 v2, v7, v2
	v_fmac_f16_e32 v9, -0.5, v10
	v_fmac_f16_e32 v8, -0.5, v11
	v_bfi_b32 v13, 0xffff, v14, v13
	v_add_f16_e32 v14, v17, v15
	v_sub_f16_e32 v17, v18, v12
	v_mul_f16_e32 v18, 0x3aee, v1
	v_mul_f16_e32 v7, 0x3aee, v4
	v_pk_add_f16 v2, v3, v2
	v_fmac_f16_e32 v9, 0x3aee, v1
	v_fmamk_f16 v1, v4, 0xbaee, v8
	v_mov_b32_e32 v10, 2
	v_fma_f16 v15, -2.0, v15, v14
	v_fma_f16 v3, 2.0, v12, v17
	v_pk_add_f16 v0, v0, v2
	v_fma_f16 v2, -2.0, v18, v9
	v_fma_f16 v7, 2.0, v7, v1
	v_lshlrev_b32_sdwa v4, v10, v33 dst_sel:DWORD dst_unused:UNUSED_PAD src0_sel:DWORD src1_sel:WORD_0
	v_pack_b32_f16 v1, v9, v1
	v_bfi_b32 v5, 0xffff, v6, v5
	v_pack_b32_f16 v6, v14, v17
	v_pack_b32_f16 v3, v15, v3
	;; [unrolled: 1-line block ×3, first 2 shown]
	v_perm_b32 v7, v51, v24, 0x5040100
	v_perm_b32 v8, v50, v21, 0x5040100
	ds_write2_b32 v4, v0, v13 offset1:1
	ds_write2_b32 v4, v5, v1 offset0:2 offset1:3
	ds_write2_b32 v4, v6, v3 offset0:4 offset1:5
	;; [unrolled: 1-line block ×3, first 2 shown]
	ds_write_b32 v4, v8 offset:32
.LBB0_7:
	s_or_b32 exec_lo, exec_lo, s4
	v_and_b32_e32 v0, 0xff, v32
	s_load_dwordx4 s[4:7], s[0:1], 0x0
	s_waitcnt lgkmcnt(0)
	s_barrier
	buffer_gl0_inv
	v_mul_lo_u16 v0, v0, 57
	v_add_nc_u32_e32 v5, 0x200, v31
	v_mov_b32_e32 v15, 63
	v_cmp_gt_u16_e64 s0, 63, v32
                                        ; implicit-def: $vgpr58
                                        ; implicit-def: $vgpr59
                                        ; implicit-def: $vgpr60
                                        ; implicit-def: $vgpr57
                                        ; implicit-def: $vgpr61
	v_lshrrev_b16 v12, 9, v0
	v_mul_lo_u16 v0, v12, 9
	v_mul_u32_u24_sdwa v12, v12, v15 dst_sel:DWORD dst_unused:UNUSED_PAD src0_sel:WORD_0 src1_sel:DWORD
	v_sub_nc_u16 v0, v32, v0
	v_and_b32_e32 v13, 0xff, v0
	v_mul_u32_u24_e32 v0, 6, v13
	v_add_lshl_u32 v34, v12, v13, 2
	v_lshlrev_b32_e32 v4, 2, v0
	s_clause 0x1
	global_load_dwordx4 v[0:3], v4, s[2:3]
	global_load_dwordx2 v[17:18], v4, s[2:3] offset:16
	v_add_nc_u32_e32 v4, 0x600, v31
	ds_read2_b32 v[6:7], v31 offset1:117
	ds_read_b32 v14, v31 offset:2808
	ds_read2_b32 v[8:9], v5 offset0:106 offset1:223
	ds_read2_b32 v[10:11], v4 offset0:84 offset1:201
	s_waitcnt vmcnt(0) lgkmcnt(0)
	s_barrier
	buffer_gl0_inv
	v_lshrrev_b32_e32 v15, 16, v7
	v_lshrrev_b32_e32 v19, 16, v14
	;; [unrolled: 1-line block ×6, first 2 shown]
	v_mul_f16_sdwa v12, v15, v0 dst_sel:DWORD dst_unused:UNUSED_PAD src0_sel:DWORD src1_sel:WORD_1
	v_mul_f16_sdwa v13, v7, v0 dst_sel:DWORD dst_unused:UNUSED_PAD src0_sel:DWORD src1_sel:WORD_1
	;; [unrolled: 1-line block ×12, first 2 shown]
	v_fma_f16 v7, v7, v0, -v12
	v_fmac_f16_e32 v13, v15, v0
	v_fma_f16 v8, v8, v1, -v26
	v_fmac_f16_e32 v27, v20, v1
	;; [unrolled: 2-line block ×6, first 2 shown]
	v_add_f16_e32 v14, v7, v12
	v_add_f16_e32 v15, v13, v39
	v_sub_f16_e32 v7, v7, v12
	v_sub_f16_e32 v12, v13, v39
	v_add_f16_e32 v13, v8, v11
	v_add_f16_e32 v19, v27, v37
	v_sub_f16_e32 v8, v8, v11
	v_sub_f16_e32 v11, v27, v37
	;; [unrolled: 4-line block ×4, first 2 shown]
	v_sub_f16_e32 v14, v14, v20
	v_sub_f16_e32 v15, v15, v22
	;; [unrolled: 1-line block ×4, first 2 shown]
	v_add_f16_e32 v19, v9, v8
	v_add_f16_e32 v29, v10, v11
	v_sub_f16_e32 v30, v9, v8
	v_sub_f16_e32 v35, v10, v11
	;; [unrolled: 1-line block ×3, first 2 shown]
	v_add_f16_e32 v20, v20, v23
	v_add_f16_e32 v22, v22, v25
	v_sub_f16_e32 v8, v8, v7
	v_sub_f16_e32 v9, v7, v9
	;; [unrolled: 1-line block ×3, first 2 shown]
	v_add_f16_e32 v7, v19, v7
	v_add_f16_e32 v12, v29, v12
	v_mul_f16_e32 v14, 0x3a52, v14
	v_mul_f16_e32 v15, 0x3a52, v15
	;; [unrolled: 1-line block ×5, first 2 shown]
	v_add_f16_e32 v19, v6, v20
	v_add_f16_sdwa v35, v6, v22 dst_sel:DWORD dst_unused:UNUSED_PAD src0_sel:WORD_1 src1_sel:DWORD
	v_mul_f16_e32 v23, 0x2b26, v13
	v_mul_f16_e32 v25, 0x2b26, v28
	;; [unrolled: 1-line block ×3, first 2 shown]
	v_fmamk_f16 v6, v13, 0x2b26, v14
	v_fmamk_f16 v13, v28, 0x2b26, v15
	;; [unrolled: 1-line block ×4, first 2 shown]
	v_fma_f16 v11, v11, 0x3b00, -v30
	v_fma_f16 v10, v10, 0xb574, -v37
	v_fmamk_f16 v20, v20, 0xbcab, v19
	v_fmamk_f16 v22, v22, 0xbcab, v35
	v_fma_f16 v23, v26, 0x39e0, -v23
	v_fma_f16 v25, v27, 0x39e0, -v25
	;; [unrolled: 1-line block ×6, first 2 shown]
	v_fmac_f16_e32 v38, 0x370e, v7
	v_fmac_f16_e32 v39, 0x370e, v12
	;; [unrolled: 1-line block ×4, first 2 shown]
	v_add_f16_e32 v6, v6, v20
	v_add_f16_e32 v12, v13, v22
	v_fmac_f16_e32 v8, 0x370e, v7
	v_fmac_f16_e32 v9, 0x370e, v7
	v_add_f16_e32 v13, v23, v20
	v_add_f16_e32 v14, v14, v20
	;; [unrolled: 1-line block ×5, first 2 shown]
	v_sub_f16_e32 v45, v12, v38
	v_add_f16_e32 v25, v10, v14
	v_sub_f16_e32 v52, v15, v9
	v_sub_f16_e32 v26, v13, v11
	v_add_f16_e32 v53, v8, v22
	v_add_f16_e32 v27, v11, v13
	v_sub_f16_e32 v54, v22, v8
	v_sub_f16_e32 v28, v14, v10
	v_add_f16_e32 v55, v9, v15
	v_sub_f16_e32 v23, v6, v39
	v_add_f16_e32 v56, v38, v12
	v_pack_b32_f16 v7, v19, v35
	v_pack_b32_f16 v6, v20, v45
	;; [unrolled: 1-line block ×7, first 2 shown]
	ds_write2_b32 v34, v7, v6 offset1:9
	ds_write2_b32 v34, v8, v9 offset0:18 offset1:27
	ds_write2_b32 v34, v10, v11 offset0:36 offset1:45
	ds_write_b32 v34, v12 offset:216
	s_waitcnt lgkmcnt(0)
	s_barrier
	buffer_gl0_inv
                                        ; implicit-def: $vgpr29
	s_and_saveexec_b32 s1, s0
	s_cbranch_execz .LBB0_9
; %bb.8:
	v_add_nc_u32_e32 v6, 0x400, v31
	ds_read2_b32 v[19:20], v31 offset1:63
	ds_read2_b32 v[25:26], v31 offset0:126 offset1:189
	ds_read2_b32 v[27:28], v5 offset0:124 offset1:187
	v_add_nc_u32_e32 v5, 0x800, v31
	ds_read2_b32 v[21:22], v4 offset0:120 offset1:183
	ds_read2_b32 v[23:24], v6 offset0:122 offset1:185
	;; [unrolled: 1-line block ×3, first 2 shown]
	ds_read_b32 v57, v31 offset:3024
	s_waitcnt lgkmcnt(6)
	v_lshrrev_b32_e32 v35, 16, v19
	v_lshrrev_b32_e32 v45, 16, v20
	s_waitcnt lgkmcnt(5)
	v_lshrrev_b32_e32 v52, 16, v25
	v_lshrrev_b32_e32 v53, 16, v26
	;; [unrolled: 3-line block ×6, first 2 shown]
	s_waitcnt lgkmcnt(0)
	v_lshrrev_b32_e32 v61, 16, v57
.LBB0_9:
	s_or_b32 exec_lo, exec_lo, s1
	v_subrev_nc_u32_e32 v4, 63, v32
	v_cndmask_b32_e64 v4, v4, v32, s0
	v_mul_i32_i24_e32 v5, 48, v4
	v_mul_hi_i32_i24_e32 v4, 48, v4
	v_add_co_u32 v12, s1, s2, v5
	v_add_co_ci_u32_e64 v13, s1, s3, v4, s1
	s_clause 0x2
	global_load_dwordx4 v[8:11], v[12:13], off offset:216
	global_load_dwordx4 v[4:7], v[12:13], off offset:232
	;; [unrolled: 1-line block ×3, first 2 shown]
	s_waitcnt vmcnt(2)
	v_mul_f16_sdwa v62, v45, v8 dst_sel:DWORD dst_unused:UNUSED_PAD src0_sel:DWORD src1_sel:WORD_1
	v_mul_f16_sdwa v63, v20, v8 dst_sel:DWORD dst_unused:UNUSED_PAD src0_sel:DWORD src1_sel:WORD_1
	;; [unrolled: 1-line block ×5, first 2 shown]
	s_waitcnt vmcnt(1)
	v_mul_f16_sdwa v67, v56, v5 dst_sel:DWORD dst_unused:UNUSED_PAD src0_sel:DWORD src1_sel:WORD_1
	s_waitcnt vmcnt(0)
	v_mul_f16_sdwa v70, v58, v12 dst_sel:DWORD dst_unused:UNUSED_PAD src0_sel:DWORD src1_sel:WORD_1
	v_mul_f16_sdwa v36, v22, v12 dst_sel:DWORD dst_unused:UNUSED_PAD src0_sel:DWORD src1_sel:WORD_1
	;; [unrolled: 1-line block ×4, first 2 shown]
	v_fmac_f16_e32 v63, v45, v8
	v_fma_f16 v62, v20, v8, -v62
	v_mul_f16_sdwa v46, v26, v10 dst_sel:DWORD dst_unused:UNUSED_PAD src0_sel:DWORD src1_sel:WORD_1
	v_mul_f16_sdwa v44, v27, v11 dst_sel:DWORD dst_unused:UNUSED_PAD src0_sel:DWORD src1_sel:WORD_1
	;; [unrolled: 1-line block ×4, first 2 shown]
	v_fma_f16 v49, v25, v9, -v47
	v_fma_f16 v47, v26, v10, -v64
	v_fmac_f16_e32 v48, v52, v9
	v_fma_f16 v26, v23, v5, -v67
	v_fma_f16 v23, v22, v12, -v70
	v_fmac_f16_e32 v36, v58, v12
	v_fma_f16 v22, v30, v14, -v72
	v_fmac_f16_e32 v38, v60, v14
	v_add_f16_e32 v30, v19, v62
	v_add_f16_e32 v58, v35, v63
	v_mul_f16_sdwa v65, v54, v11 dst_sel:DWORD dst_unused:UNUSED_PAD src0_sel:DWORD src1_sel:WORD_1
	v_mul_f16_sdwa v39, v57, v15 dst_sel:DWORD dst_unused:UNUSED_PAD src0_sel:DWORD src1_sel:WORD_1
	v_fmac_f16_e32 v46, v53, v10
	v_fmac_f16_e32 v44, v54, v11
	;; [unrolled: 1-line block ×3, first 2 shown]
	v_sub_f16_e32 v54, v48, v38
	v_add_f16_e32 v53, v48, v38
	v_add_f16_e32 v30, v30, v49
	;; [unrolled: 1-line block ×3, first 2 shown]
	v_mul_f16_sdwa v66, v55, v4 dst_sel:DWORD dst_unused:UNUSED_PAD src0_sel:DWORD src1_sel:WORD_1
	v_mul_f16_sdwa v43, v28, v4 dst_sel:DWORD dst_unused:UNUSED_PAD src0_sel:DWORD src1_sel:WORD_1
	;; [unrolled: 1-line block ×7, first 2 shown]
	v_fma_f16 v45, v27, v11, -v65
	v_fmac_f16_e32 v42, v56, v5
	v_fmac_f16_e32 v39, v61, v15
	v_sub_f16_e32 v59, v46, v37
	v_add_f16_e32 v56, v46, v37
	v_add_f16_e32 v30, v30, v47
	;; [unrolled: 1-line block ×3, first 2 shown]
	v_mul_f16_sdwa v40, v21, v7 dst_sel:DWORD dst_unused:UNUSED_PAD src0_sel:DWORD src1_sel:WORD_1
	v_fma_f16 v27, v28, v4, -v66
	v_fmac_f16_e32 v43, v55, v4
	v_fma_f16 v25, v24, v6, -v68
	v_fmac_f16_e32 v41, v51, v6
	v_fma_f16 v24, v21, v7, -v69
	v_fma_f16 v20, v57, v15, -v73
	v_sub_f16_e32 v51, v63, v39
	v_add_f16_e32 v28, v63, v39
	v_sub_f16_e32 v63, v44, v36
	v_add_f16_e32 v61, v44, v36
	v_add_f16_e32 v30, v30, v45
	;; [unrolled: 1-line block ×3, first 2 shown]
	v_fmac_f16_e32 v40, v50, v7
	v_sub_f16_e32 v50, v62, v20
	v_add_f16_e32 v64, v27, v24
	v_sub_f16_e32 v68, v27, v24
	v_add_f16_e32 v27, v30, v27
	v_add_f16_e32 v30, v44, v43
	v_fma_f16 v21, v29, v13, -v71
	v_add_f16_e32 v29, v62, v20
	v_sub_f16_e32 v57, v49, v22
	v_add_f16_e32 v70, v26, v25
	v_sub_f16_e32 v71, v26, v25
	v_mul_f16_e32 v73, 0xb770, v51
	v_mul_f16_e32 v74, 0xb770, v50
	;; [unrolled: 1-line block ×7, first 2 shown]
	v_add_f16_e32 v26, v27, v26
	v_add_f16_e32 v27, v30, v42
	;; [unrolled: 1-line block ×3, first 2 shown]
	v_sub_f16_e32 v62, v47, v21
	v_mul_f16_e32 v76, 0xba95, v50
	v_mul_f16_e32 v78, 0xbbf1, v50
	;; [unrolled: 1-line block ×12, first 2 shown]
	v_fma_f16 v123, v29, 0x3b15, -v73
	v_fmac_f16_e32 v73, 0x3b15, v29
	v_fma_f16 v124, v29, 0x388b, -v75
	v_fmac_f16_e32 v75, 0x388b, v29
	;; [unrolled: 2-line block ×6, first 2 shown]
	v_fmamk_f16 v29, v28, 0x3b15, v74
	v_fma_f16 v74, v28, 0x3b15, -v74
	v_add_f16_e32 v25, v26, v25
	v_add_f16_e32 v26, v27, v41
	;; [unrolled: 1-line block ×4, first 2 shown]
	v_sub_f16_e32 v66, v45, v23
	v_mul_f16_e32 v58, 0xbb7b, v57
	v_mul_f16_e32 v88, 0xb3a8, v57
	;; [unrolled: 1-line block ×7, first 2 shown]
	v_fmamk_f16 v129, v28, 0x388b, v76
	v_fma_f16 v76, v28, 0x388b, -v76
	v_fmamk_f16 v130, v28, 0x2fb7, v78
	v_fma_f16 v78, v28, 0x2fb7, -v78
	;; [unrolled: 2-line block ×5, first 2 shown]
	v_fma_f16 v50, v52, 0x388b, -v83
	v_fmac_f16_e32 v83, 0x388b, v52
	v_fma_f16 v134, v52, 0xb5ac, -v84
	v_fmac_f16_e32 v84, 0xb5ac, v52
	;; [unrolled: 2-line block ×6, first 2 shown]
	v_fmamk_f16 v52, v53, 0x388b, v49
	v_fma_f16 v49, v53, 0x388b, -v49
	v_add_f16_e32 v123, v19, v123
	v_add_f16_e32 v73, v19, v73
	;; [unrolled: 1-line block ×6, first 2 shown]
	v_sub_f16_e32 v67, v43, v40
	v_add_f16_e32 v65, v43, v40
	v_mul_f16_e32 v92, 0xb3a8, v59
	v_mul_f16_e32 v93, 0x3b7b, v59
	v_mul_f16_e32 v94, 0x3770, v59
	v_mul_f16_e32 v95, 0xba95, v59
	v_mul_f16_e32 v59, 0xb94e, v59
	v_mul_f16_e32 v97, 0xb3a8, v62
	v_mul_f16_e32 v98, 0x3b7b, v62
	v_mul_f16_e32 v99, 0x3770, v62
	v_mul_f16_e32 v100, 0xba95, v62
	v_mul_f16_e32 v62, 0xb94e, v62
	v_mul_f16_e32 v101, 0xbb7b, v63
	v_mul_f16_e32 v102, 0x394e, v63
	v_mul_f16_e32 v103, 0x3770, v63
	v_mul_f16_e32 v104, 0xbbf1, v63
	v_mul_f16_e32 v105, 0x33a8, v63
	v_mul_f16_e32 v63, 0x3a95, v63
	v_mul_f16_e32 v106, 0xbb7b, v66
	v_fmamk_f16 v139, v53, 0xb5ac, v58
	v_fma_f16 v58, v53, 0xb5ac, -v58
	v_fmamk_f16 v140, v53, 0xbbc4, v88
	v_fma_f16 v88, v53, 0xbbc4, -v88
	;; [unrolled: 2-line block ×5, first 2 shown]
	v_fma_f16 v57, v55, 0x2fb7, -v91
	v_fmac_f16_e32 v91, 0x2fb7, v55
	v_fmamk_f16 v47, v56, 0x2fb7, v96
	v_fma_f16 v48, v56, 0x2fb7, -v96
	v_add_f16_e32 v124, v19, v124
	v_add_f16_e32 v75, v19, v75
	;; [unrolled: 1-line block ×26, first 2 shown]
	v_sub_f16_e32 v69, v42, v41
	v_mul_f16_e32 v107, 0x394e, v66
	v_mul_f16_e32 v108, 0x3770, v66
	;; [unrolled: 1-line block ×12, first 2 shown]
	v_fma_f16 v144, v55, 0xbbc4, -v92
	v_fmac_f16_e32 v92, 0xbbc4, v55
	v_fma_f16 v145, v55, 0xb5ac, -v93
	v_fmac_f16_e32 v93, 0xb5ac, v55
	;; [unrolled: 2-line block ×5, first 2 shown]
	v_fmamk_f16 v55, v56, 0xbbc4, v97
	v_fma_f16 v96, v56, 0xbbc4, -v97
	v_fmamk_f16 v97, v56, 0xb5ac, v98
	v_fma_f16 v98, v56, 0xb5ac, -v98
	;; [unrolled: 2-line block ×5, first 2 shown]
	v_fma_f16 v62, v60, 0xb5ac, -v101
	v_fmac_f16_e32 v101, 0xb5ac, v60
	v_fma_f16 v152, v60, 0xb9fd, -v102
	v_fmac_f16_e32 v102, 0xb9fd, v60
	;; [unrolled: 2-line block ×6, first 2 shown]
	v_fmamk_f16 v60, v61, 0xb5ac, v106
	v_fma_f16 v106, v61, 0xb5ac, -v106
	v_add_f16_e32 v45, v134, v124
	v_add_f16_e32 v46, v139, v46
	;; [unrolled: 1-line block ×25, first 2 shown]
	v_mul_f16_e32 v117, 0x3bf1, v68
	v_mul_f16_e32 v118, 0xba95, v68
	v_mul_f16_e32 v119, 0x33a8, v68
	v_mul_f16_e32 v120, 0x3770, v68
	v_mul_f16_e32 v68, 0xbb7b, v68
	v_mul_f16_e32 v121, 0xb3a8, v69
	v_mul_f16_e32 v122, 0xb3a8, v71
	v_fmamk_f16 v157, v61, 0xb9fd, v107
	v_fma_f16 v107, v61, 0xb9fd, -v107
	v_fmamk_f16 v158, v61, 0x3b15, v108
	v_fma_f16 v108, v61, 0x3b15, -v108
	;; [unrolled: 2-line block ×5, first 2 shown]
	v_fma_f16 v66, v64, 0xb9fd, -v111
	v_fmac_f16_e32 v111, 0xb9fd, v64
	v_fma_f16 v162, v64, 0x2fb7, -v112
	v_fmac_f16_e32 v112, 0x2fb7, v64
	;; [unrolled: 2-line block ×6, first 2 shown]
	v_fmamk_f16 v64, v65, 0xb9fd, v116
	v_fma_f16 v116, v65, 0xb9fd, -v116
	v_add_f16_e32 v28, v53, v28
	v_add_f16_e32 v45, v144, v45
	v_add_f16_e32 v46, v55, v46
	v_add_f16_e32 v47, v92, v49
	v_add_f16_e32 v48, v96, v50
	v_add_f16_e32 v49, v145, v51
	v_add_f16_e32 v50, v97, v52
	v_add_f16_e32 v51, v93, v58
	v_add_f16_e32 v52, v98, v73
	v_add_f16_e32 v53, v146, v74
	v_add_f16_e32 v54, v149, v75
	v_add_f16_e32 v55, v94, v76
	v_add_f16_e32 v57, v99, v77
	v_add_f16_e32 v58, v147, v78
	v_add_f16_e32 v73, v150, v79
	v_add_f16_e32 v74, v95, v80
	v_add_f16_e32 v75, v100, v81
	v_add_f16_e32 v76, v148, v82
	v_add_f16_e32 v19, v59, v19
	v_add_f16_e32 v27, v62, v35
	v_add_f16_e32 v29, v60, v29
	v_add_f16_e32 v35, v101, v43
	v_add_f16_e32 v41, v106, v44
	v_add_f16_e32 v21, v21, v22
	v_add_f16_e32 v22, v23, v38
	v_fmamk_f16 v167, v65, 0x2fb7, v117
	v_fma_f16 v117, v65, 0x2fb7, -v117
	v_fmamk_f16 v168, v65, 0x388b, v118
	v_fma_f16 v118, v65, 0x388b, -v118
	;; [unrolled: 2-line block ×5, first 2 shown]
	v_fma_f16 v68, v70, 0xbbc4, -v121
	v_add_f16_e32 v28, v56, v28
	v_add_f16_e32 v42, v152, v45
	;; [unrolled: 1-line block ×25, first 2 shown]
	v_mul_f16_e32 v20, 0x3770, v69
	v_fma_f16 v21, v72, 0xbbc4, -v122
	v_mul_f16_e32 v22, 0x3770, v71
	v_add_f16_e32 v41, v162, v42
	v_add_f16_e32 v42, v167, v43
	;; [unrolled: 1-line block ×19, first 2 shown]
	v_fmamk_f16 v19, v72, 0xbbc4, v122
	v_fmac_f16_e32 v121, 0xbbc4, v70
	v_fma_f16 v25, v70, 0x3b15, -v20
	v_add_f16_e32 v39, v21, v35
	v_fmamk_f16 v21, v72, 0x3b15, v22
	v_mul_f16_e32 v26, 0xb94e, v69
	v_fmac_f16_e32 v20, 0x3b15, v70
	v_add_f16_e32 v28, v61, v28
	v_add_f16_e32 v19, v19, v27
	;; [unrolled: 1-line block ×4, first 2 shown]
	v_fma_f16 v25, v72, 0x3b15, -v22
	v_add_f16_e32 v41, v21, v42
	v_fma_f16 v21, v70, 0xb9fd, -v26
	v_mul_f16_e32 v29, 0xb94e, v71
	v_add_f16_e32 v22, v20, v43
	v_mul_f16_e32 v20, 0x3a95, v69
	v_add_f16_e32 v83, v143, v130
	v_add_f16_e32 v59, v65, v28
	;; [unrolled: 1-line block ×4, first 2 shown]
	v_fmamk_f16 v21, v72, 0xb9fd, v29
	v_fmac_f16_e32 v26, 0xb9fd, v70
	v_fma_f16 v25, v72, 0xb9fd, -v29
	v_fma_f16 v29, v70, 0x388b, -v20
	v_mul_f16_e32 v35, 0x3a95, v71
	v_add_f16_e32 v30, v151, v83
	v_add_f16_e32 v42, v21, v46
	;; [unrolled: 1-line block ×5, first 2 shown]
	v_fmamk_f16 v26, v72, 0x388b, v35
	v_mul_f16_e32 v29, 0xbb7b, v69
	v_add_f16_e32 v30, v161, v30
	v_mul_f16_e32 v45, 0xbb7b, v71
	v_mul_f16_e32 v47, 0x3bf1, v69
	v_add_f16_e32 v43, v26, v50
	v_fma_f16 v26, v70, 0xb5ac, -v29
	v_fmac_f16_e32 v29, 0xb5ac, v70
	v_mul_f16_e32 v48, 0x3bf1, v71
	v_add_f16_e32 v30, v171, v30
	v_fmac_f16_e32 v20, 0x388b, v70
	v_fma_f16 v35, v72, 0x388b, -v35
	v_fmamk_f16 v44, v72, 0xb5ac, v45
	v_add_f16_e32 v46, v29, v55
	v_fma_f16 v29, v72, 0xb5ac, -v45
	v_fma_f16 v45, v70, 0x2fb7, -v47
	v_fmamk_f16 v49, v72, 0x2fb7, v48
	v_fmac_f16_e32 v47, 0x2fb7, v70
	v_fma_f16 v50, v72, 0x2fb7, -v48
	v_add_f16_e32 v20, v20, v51
	v_add_f16_e32 v35, v35, v52
	v_add_f16_e32 v26, v26, v53
	v_add_f16_e32 v44, v44, v54
	v_add_f16_e32 v48, v29, v56
	v_add_f16_e32 v29, v45, v57
	v_add_f16_e32 v45, v49, v30
	v_add_f16_e32 v30, v47, v58
	v_add_f16_e32 v47, v50, v59
	s_and_saveexec_b32 s1, s0
	s_cbranch_execz .LBB0_11
; %bb.10:
	v_perm_b32 v49, v40, v23, 0x5040100
	v_perm_b32 v50, v19, v24, 0x5040100
	;; [unrolled: 1-line block ×5, first 2 shown]
	ds_write2_b32 v31, v49, v50 offset1:63
	ds_write2_b32 v31, v51, v52 offset0:126 offset1:189
	v_perm_b32 v49, v43, v25, 0x5040100
	v_perm_b32 v50, v44, v26, 0x5040100
	v_add_nc_u32_e32 v51, 0x200, v31
	v_perm_b32 v52, v45, v29, 0x5040100
	v_add_nc_u32_e32 v54, 0x400, v31
	v_perm_b32 v55, v48, v46, 0x5040100
	v_perm_b32 v56, v35, v20, 0x5040100
	v_add_nc_u32_e32 v57, 0x600, v31
	v_perm_b32 v58, v38, v21, 0x5040100
	;; [unrolled: 3-line block ×3, first 2 shown]
	ds_write2_b32 v51, v49, v50 offset0:124 offset1:187
	ds_write2_b32 v54, v52, v53 offset0:122 offset1:185
	;; [unrolled: 1-line block ×4, first 2 shown]
	ds_write_b32 v31, v61 offset:3024
.LBB0_11:
	s_or_b32 exec_lo, exec_lo, s1
	s_waitcnt lgkmcnt(0)
	s_barrier
	buffer_gl0_inv
	s_and_saveexec_b32 s2, vcc_lo
	s_cbranch_execz .LBB0_13
; %bb.12:
	v_add_co_u32 v53, s1, s10, v31
	v_add_co_ci_u32_e64 v54, null, s11, 0, s1
	v_add_nc_u32_e32 v65, 0x400, v31
	v_add_co_u32 v49, s1, 0x800, v53
	v_add_co_ci_u32_e64 v50, s1, 0, v54, s1
	v_add_nc_u32_e32 v66, 0x600, v31
	v_add_nc_u32_e32 v67, 0x800, v31
	global_load_dword v55, v[49:50], off offset:1228
	v_add_co_u32 v49, s1, 0xccc, v53
	v_add_co_ci_u32_e64 v50, s1, 0, v54, s1
	v_add_co_u32 v51, s1, 0x1000, v53
	v_add_co_ci_u32_e64 v52, s1, 0, v54, s1
	s_clause 0x6
	global_load_dword v57, v[49:50], off offset:364
	global_load_dword v58, v[49:50], off offset:728
	;; [unrolled: 1-line block ×7, first 2 shown]
	v_add_co_u32 v49, s1, 0x1800, v53
	v_add_co_ci_u32_e64 v50, s1, 0, v54, s1
	global_load_dword v64, v[49:50], off offset:44
	ds_read_b32 v49, v31
	s_waitcnt lgkmcnt(0)
	v_lshrrev_b32_e32 v50, 16, v49
	s_waitcnt vmcnt(8)
	v_mul_f16_sdwa v51, v50, v55 dst_sel:DWORD dst_unused:UNUSED_PAD src0_sel:DWORD src1_sel:WORD_1
	v_mul_f16_sdwa v52, v49, v55 dst_sel:DWORD dst_unused:UNUSED_PAD src0_sel:DWORD src1_sel:WORD_1
	v_fma_f16 v49, v49, v55, -v51
	v_fmac_f16_e32 v52, v50, v55
	v_pack_b32_f16 v49, v49, v52
	ds_write_b32 v31, v49
	ds_read2_b32 v[49:50], v31 offset0:91 offset1:182
	ds_read2_b32 v[51:52], v65 offset0:17 offset1:108
	;; [unrolled: 1-line block ×4, first 2 shown]
	s_waitcnt lgkmcnt(3)
	v_lshrrev_b32_e32 v68, 16, v49
	s_waitcnt vmcnt(7)
	v_mul_f16_sdwa v69, v49, v57 dst_sel:DWORD dst_unused:UNUSED_PAD src0_sel:DWORD src1_sel:WORD_1
	v_lshrrev_b32_e32 v70, 16, v50
	s_waitcnt vmcnt(6)
	v_mul_f16_sdwa v71, v50, v58 dst_sel:DWORD dst_unused:UNUSED_PAD src0_sel:DWORD src1_sel:WORD_1
	s_waitcnt lgkmcnt(2)
	v_lshrrev_b32_e32 v72, 16, v51
	s_waitcnt vmcnt(5)
	v_mul_f16_sdwa v73, v51, v59 dst_sel:DWORD dst_unused:UNUSED_PAD src0_sel:DWORD src1_sel:WORD_1
	v_lshrrev_b32_e32 v74, 16, v52
	s_waitcnt vmcnt(4)
	v_mul_f16_sdwa v75, v52, v60 dst_sel:DWORD dst_unused:UNUSED_PAD src0_sel:DWORD src1_sel:WORD_1
	s_waitcnt lgkmcnt(1)
	v_lshrrev_b32_e32 v76, 16, v53
	s_waitcnt vmcnt(1)
	v_mul_f16_sdwa v77, v53, v63 dst_sel:DWORD dst_unused:UNUSED_PAD src0_sel:DWORD src1_sel:WORD_1
	v_lshrrev_b32_e32 v78, 16, v54
	v_mul_f16_sdwa v79, v54, v61 dst_sel:DWORD dst_unused:UNUSED_PAD src0_sel:DWORD src1_sel:WORD_1
	s_waitcnt lgkmcnt(0)
	v_lshrrev_b32_e32 v80, 16, v55
	v_mul_f16_sdwa v81, v55, v62 dst_sel:DWORD dst_unused:UNUSED_PAD src0_sel:DWORD src1_sel:WORD_1
	v_lshrrev_b32_e32 v82, 16, v56
	v_mul_f16_sdwa v84, v68, v57 dst_sel:DWORD dst_unused:UNUSED_PAD src0_sel:DWORD src1_sel:WORD_1
	v_fmac_f16_e32 v69, v68, v57
	v_mul_f16_sdwa v68, v70, v58 dst_sel:DWORD dst_unused:UNUSED_PAD src0_sel:DWORD src1_sel:WORD_1
	v_fmac_f16_e32 v71, v70, v58
	;; [unrolled: 2-line block ×5, first 2 shown]
	v_mul_f16_sdwa v76, v78, v61 dst_sel:DWORD dst_unused:UNUSED_PAD src0_sel:DWORD src1_sel:WORD_1
	s_waitcnt vmcnt(0)
	v_mul_f16_sdwa v83, v56, v64 dst_sel:DWORD dst_unused:UNUSED_PAD src0_sel:DWORD src1_sel:WORD_1
	v_fmac_f16_e32 v79, v78, v61
	v_mul_f16_sdwa v78, v80, v62 dst_sel:DWORD dst_unused:UNUSED_PAD src0_sel:DWORD src1_sel:WORD_1
	v_fmac_f16_e32 v81, v80, v62
	v_mul_f16_sdwa v80, v82, v64 dst_sel:DWORD dst_unused:UNUSED_PAD src0_sel:DWORD src1_sel:WORD_1
	v_fma_f16 v49, v49, v57, -v84
	v_fma_f16 v50, v50, v58, -v68
	;; [unrolled: 1-line block ×6, first 2 shown]
	v_fmac_f16_e32 v83, v82, v64
	v_fma_f16 v55, v55, v62, -v78
	v_fma_f16 v56, v56, v64, -v80
	v_pack_b32_f16 v49, v49, v69
	v_pack_b32_f16 v50, v50, v71
	;; [unrolled: 1-line block ×8, first 2 shown]
	ds_write2_b32 v31, v49, v50 offset0:91 offset1:182
	ds_write2_b32 v65, v51, v52 offset0:17 offset1:108
	;; [unrolled: 1-line block ×4, first 2 shown]
.LBB0_13:
	s_or_b32 exec_lo, exec_lo, s2
	s_waitcnt lgkmcnt(0)
	s_barrier
	buffer_gl0_inv
	s_and_saveexec_b32 s1, vcc_lo
	s_cbranch_execz .LBB0_15
; %bb.14:
	v_add_nc_u32_e32 v19, 0x200, v31
	v_add_nc_u32_e32 v25, 0x400, v31
	;; [unrolled: 1-line block ×3, first 2 shown]
	ds_read2_b32 v[23:24], v31 offset1:91
	ds_read2_b32 v[27:28], v19 offset0:54 offset1:145
	ds_read2_b32 v[25:26], v25 offset0:108 offset1:199
	;; [unrolled: 1-line block ×3, first 2 shown]
	ds_read_b32 v46, v31 offset:2912
	s_waitcnt lgkmcnt(3)
	v_lshrrev_b32_e32 v41, 16, v27
	v_lshrrev_b32_e32 v40, 16, v23
	;; [unrolled: 1-line block ×4, first 2 shown]
	s_waitcnt lgkmcnt(2)
	v_lshrrev_b32_e32 v43, 16, v25
	v_lshrrev_b32_e32 v44, 16, v26
	s_waitcnt lgkmcnt(1)
	v_lshrrev_b32_e32 v45, 16, v29
	v_lshrrev_b32_e32 v47, 16, v30
	s_waitcnt lgkmcnt(0)
	v_lshrrev_b32_e32 v48, 16, v46
.LBB0_15:
	s_or_b32 exec_lo, exec_lo, s1
	v_sub_f16_e32 v50, v24, v46
	v_sub_f16_e32 v51, v19, v48
	v_add_f16_e32 v52, v46, v24
	v_sub_f16_e32 v46, v27, v30
	v_sub_f16_e32 v49, v41, v47
	v_add_f16_e32 v48, v48, v19
	;; [unrolled: 3-line block ×3, first 2 shown]
	v_add_f16_e32 v53, v47, v41
	v_add_f16_e32 v28, v29, v28
	v_sub_f16_e32 v27, v25, v26
	v_sub_f16_e32 v47, v43, v44
	v_add_f16_e32 v29, v45, v42
	v_add_f16_e32 v54, v26, v25
	;; [unrolled: 1-line block ×3, first 2 shown]
	v_mul_f16_e32 v24, 0x3924, v50
	v_mul_f16_e32 v61, 0x3924, v51
	v_fmamk_f16 v19, v52, 0x3a21, v23
	v_fmamk_f16 v41, v48, 0x3a21, v40
	v_mul_f16_e32 v42, 0x3924, v27
	v_mul_f16_e32 v55, 0x3924, v47
	v_fmamk_f16 v56, v54, 0x3a21, v23
	v_fmamk_f16 v62, v45, 0x3a21, v40
	v_fmac_f16_e32 v24, 0x3be1, v46
	v_fmac_f16_e32 v61, 0x3be1, v49
	;; [unrolled: 1-line block ×4, first 2 shown]
	v_fma_f16 v63, v50, 0x3be1, -v42
	v_fma_f16 v64, v51, 0x3be1, -v55
	v_fmac_f16_e32 v56, 0x318f, v52
	v_fmac_f16_e32 v62, 0x318f, v48
	;; [unrolled: 1-line block ×4, first 2 shown]
	v_fmac_f16_e32 v19, -0.5, v28
	v_fmac_f16_e32 v41, -0.5, v29
	v_fmac_f16_e32 v63, 0xbaee, v59
	v_fmac_f16_e32 v64, 0xbaee, v60
	v_fmac_f16_e32 v56, -0.5, v28
	v_fmac_f16_e32 v62, -0.5, v29
	v_fmac_f16_e32 v24, 0x3579, v27
	v_fmac_f16_e32 v61, 0x3579, v47
	;; [unrolled: 1-line block ×8, first 2 shown]
	v_sub_f16_e32 v57, v19, v61
	v_add_f16_e32 v58, v24, v41
	v_sub_f16_e32 v55, v56, v64
	v_add_f16_e32 v56, v63, v62
	v_fma_f16 v19, 2.0, v61, v57
	v_fma_f16 v42, -2.0, v24, v58
	s_barrier
	v_fma_f16 v24, 2.0, v64, v55
	v_fma_f16 v41, -2.0, v63, v56
	buffer_gl0_inv
	s_and_saveexec_b32 s1, vcc_lo
	s_cbranch_execz .LBB0_17
; %bb.16:
	v_mul_f16_e32 v62, 0x3be1, v47
	v_fmamk_f16 v65, v53, 0x3a21, v40
	v_mul_f16_e32 v60, 0x3aee, v60
	v_mul_f16_e32 v66, 0.5, v29
	v_add_f16_e32 v53, v53, v48
	v_fma_f16 v62, v49, 0xb924, -v62
	v_fmac_f16_e32 v65, 0x318f, v45
	v_fmamk_f16 v63, v30, 0x3a21, v23
	v_mul_f16_e32 v64, 0x3be1, v27
	v_add_f16_e32 v30, v30, v52
	v_add_f16_e32 v60, v60, v62
	v_sub_f16_e32 v62, v65, v66
	v_mul_f16_e32 v59, 0x3aee, v59
	v_mul_f16_e32 v61, 0.5, v28
	v_fmac_f16_e32 v63, 0x318f, v54
	v_fma_f16 v64, v46, 0xb924, -v64
	v_fmac_f16_e32 v62, 0xbb84, v48
	v_add_f16_e32 v48, v29, v53
	v_add_f16_e32 v47, v47, v51
	v_sub_f16_e32 v61, v63, v61
	v_add_f16_e32 v59, v59, v64
	v_add_f16_e32 v27, v27, v50
	;; [unrolled: 1-line block ×5, first 2 shown]
	v_fmac_f16_e32 v60, 0x3579, v51
	v_fmac_f16_e32 v61, 0xbb84, v52
	v_add_f16_e32 v43, v44, v43
	v_add_f16_e32 v44, v28, v30
	;; [unrolled: 1-line block ×4, first 2 shown]
	v_fmac_f16_e32 v59, 0x3579, v50
	v_sub_f16_e32 v27, v27, v46
	v_add_f16_e32 v25, v25, v44
	v_sub_f16_e32 v44, v47, v49
	v_fmac_f16_e32 v28, -0.5, v30
	v_fmac_f16_e32 v29, -0.5, v45
	v_sub_f16_e32 v61, v61, v60
	v_add_f16_e32 v25, v26, v25
	v_add_f16_e32 v62, v59, v62
	v_mul_f16_e32 v26, 0x3aee, v44
	v_fmac_f16_e32 v28, 0xbaee, v44
	v_mul_f16_e32 v30, 0x3aee, v27
	v_fmac_f16_e32 v29, 0x3aee, v27
	v_mov_b32_e32 v27, 2
	v_add_f16_e32 v40, v40, v43
	v_add_f16_e32 v23, v23, v25
	v_fma_f16 v48, 2.0, v60, v61
	v_fma_f16 v52, -2.0, v59, v62
	v_fma_f16 v25, 2.0, v26, v28
	v_fma_f16 v26, -2.0, v30, v29
	v_lshlrev_b32_sdwa v27, v27, v33 dst_sel:DWORD dst_unused:UNUSED_PAD src0_sel:DWORD src1_sel:WORD_0
	v_perm_b32 v30, v58, v57, 0x5040100
	v_pack_b32_f16 v23, v23, v40
	v_pack_b32_f16 v28, v28, v29
	v_perm_b32 v29, v56, v55, 0x5040100
	v_pack_b32_f16 v33, v61, v62
	v_pack_b32_f16 v40, v48, v52
	;; [unrolled: 1-line block ×3, first 2 shown]
	v_perm_b32 v26, v41, v24, 0x5040100
	v_perm_b32 v43, v42, v19, 0x5040100
	ds_write2_b32 v27, v23, v30 offset1:1
	ds_write2_b32 v27, v29, v28 offset0:2 offset1:3
	ds_write2_b32 v27, v33, v40 offset0:4 offset1:5
	;; [unrolled: 1-line block ×3, first 2 shown]
	ds_write_b32 v27, v43 offset:32
.LBB0_17:
	s_or_b32 exec_lo, exec_lo, s1
	s_waitcnt lgkmcnt(0)
	s_barrier
	buffer_gl0_inv
	ds_read2_b32 v[28:29], v31 offset1:117
	v_add_nc_u32_e32 v27, 0x200, v31
	v_add_nc_u32_e32 v26, 0x600, v31
	ds_read_b32 v23, v31 offset:2808
	ds_read2_b32 v[43:44], v27 offset0:106 offset1:223
	ds_read2_b32 v[45:46], v26 offset0:84 offset1:201
	s_waitcnt lgkmcnt(0)
	s_barrier
	buffer_gl0_inv
	v_lshrrev_b32_e32 v25, 16, v29
	v_mul_f16_sdwa v33, v0, v29 dst_sel:DWORD dst_unused:UNUSED_PAD src0_sel:WORD_1 src1_sel:DWORD
	v_lshrrev_b32_e32 v30, 16, v23
	v_mul_f16_sdwa v40, v18, v23 dst_sel:DWORD dst_unused:UNUSED_PAD src0_sel:WORD_1 src1_sel:DWORD
	v_lshrrev_b32_e32 v47, 16, v43
	v_lshrrev_b32_e32 v48, 16, v44
	;; [unrolled: 1-line block ×3, first 2 shown]
	v_mul_f16_sdwa v51, v0, v25 dst_sel:DWORD dst_unused:UNUSED_PAD src0_sel:WORD_1 src1_sel:DWORD
	v_fma_f16 v25, v0, v25, -v33
	v_mul_f16_sdwa v33, v1, v43 dst_sel:DWORD dst_unused:UNUSED_PAD src0_sel:WORD_1 src1_sel:DWORD
	v_mul_f16_sdwa v52, v2, v44 dst_sel:DWORD dst_unused:UNUSED_PAD src0_sel:WORD_1 src1_sel:DWORD
	v_lshrrev_b32_e32 v49, 16, v45
	v_mul_f16_sdwa v54, v17, v46 dst_sel:DWORD dst_unused:UNUSED_PAD src0_sel:WORD_1 src1_sel:DWORD
	v_mul_f16_sdwa v55, v18, v30 dst_sel:DWORD dst_unused:UNUSED_PAD src0_sel:WORD_1 src1_sel:DWORD
	v_fma_f16 v30, v18, v30, -v40
	v_fmac_f16_e32 v51, v0, v29
	v_mul_f16_sdwa v0, v1, v47 dst_sel:DWORD dst_unused:UNUSED_PAD src0_sel:WORD_1 src1_sel:DWORD
	v_fma_f16 v29, v1, v47, -v33
	v_mul_f16_sdwa v33, v2, v48 dst_sel:DWORD dst_unused:UNUSED_PAD src0_sel:WORD_1 src1_sel:DWORD
	v_fma_f16 v40, v2, v48, -v52
	v_mul_f16_sdwa v48, v17, v50 dst_sel:DWORD dst_unused:UNUSED_PAD src0_sel:WORD_1 src1_sel:DWORD
	v_mul_f16_sdwa v53, v3, v45 dst_sel:DWORD dst_unused:UNUSED_PAD src0_sel:WORD_1 src1_sel:DWORD
	;; [unrolled: 1-line block ×3, first 2 shown]
	v_fmac_f16_e32 v55, v18, v23
	v_fmac_f16_e32 v0, v1, v43
	;; [unrolled: 1-line block ×4, first 2 shown]
	v_fma_f16 v2, v17, v50, -v54
	v_fmac_f16_e32 v47, v3, v45
	v_fma_f16 v1, v3, v49, -v53
	v_add_f16_e32 v3, v51, v55
	v_add_f16_e32 v17, v25, v30
	v_sub_f16_e32 v23, v25, v30
	v_add_f16_e32 v25, v0, v48
	v_add_f16_e32 v30, v29, v2
	v_sub_f16_e32 v0, v0, v48
	v_sub_f16_e32 v2, v29, v2
	v_add_f16_e32 v29, v33, v47
	v_add_f16_e32 v43, v40, v1
	v_sub_f16_e32 v33, v47, v33
	;; [unrolled: 4-line block ×3, first 2 shown]
	v_sub_f16_e32 v45, v25, v3
	v_sub_f16_e32 v46, v30, v17
	;; [unrolled: 1-line block ×5, first 2 shown]
	v_add_f16_e32 v25, v33, v0
	v_add_f16_e32 v48, v1, v2
	v_sub_f16_e32 v49, v33, v0
	v_sub_f16_e32 v50, v1, v2
	v_add_f16_e32 v29, v29, v40
	v_add_f16_e32 v40, v43, v44
	v_sub_f16_e32 v30, v43, v30
	v_sub_f16_e32 v51, v0, v18
	;; [unrolled: 1-line block ×5, first 2 shown]
	v_add_f16_e32 v18, v25, v18
	v_add_f16_e32 v23, v48, v23
	v_add_f16_e32 v0, v28, v29
	v_add_f16_sdwa v25, v28, v40 dst_sel:DWORD dst_unused:UNUSED_PAD src0_sel:WORD_1 src1_sel:DWORD
	v_mul_f16_e32 v3, 0x3a52, v3
	v_mul_f16_e32 v17, 0x3a52, v17
	;; [unrolled: 1-line block ×8, first 2 shown]
	v_fmamk_f16 v29, v29, 0xbcab, v0
	v_fmamk_f16 v40, v40, 0xbcab, v25
	v_fmamk_f16 v47, v47, 0x2b26, v3
	v_fmamk_f16 v30, v30, 0x2b26, v17
	v_fmamk_f16 v52, v33, 0xb574, v44
	v_fmamk_f16 v53, v1, 0xb574, v48
	v_fma_f16 v28, v45, 0x39e0, -v28
	v_fma_f16 v43, v46, 0x39e0, -v43
	;; [unrolled: 1-line block ×8, first 2 shown]
	v_add_f16_e32 v47, v47, v29
	v_add_f16_e32 v30, v30, v40
	v_fmac_f16_e32 v52, 0xb70e, v18
	v_fmac_f16_e32 v53, 0xb70e, v23
	v_add_f16_e32 v28, v28, v29
	v_add_f16_e32 v43, v43, v40
	;; [unrolled: 1-line block ×4, first 2 shown]
	v_fmac_f16_e32 v44, 0xb70e, v18
	v_fmac_f16_e32 v48, 0xb70e, v23
	;; [unrolled: 1-line block ×4, first 2 shown]
	v_add_f16_e32 v1, v53, v47
	v_sub_f16_e32 v29, v30, v52
	v_add_f16_e32 v17, v48, v3
	v_sub_f16_e32 v46, v40, v33
	v_sub_f16_e32 v18, v28, v2
	v_add_f16_e32 v45, v44, v43
	v_add_f16_e32 v2, v2, v28
	v_sub_f16_e32 v44, v43, v44
	v_sub_f16_e32 v3, v3, v48
	v_add_f16_e32 v43, v33, v40
	v_sub_f16_e32 v23, v47, v53
	v_add_f16_e32 v40, v52, v30
	v_pack_b32_f16 v28, v0, v25
	v_pack_b32_f16 v30, v1, v29
	v_pack_b32_f16 v33, v17, v46
	v_pack_b32_f16 v47, v18, v45
	v_pack_b32_f16 v48, v2, v44
	v_pack_b32_f16 v49, v3, v43
	v_pack_b32_f16 v50, v23, v40
	ds_write2_b32 v34, v28, v30 offset1:9
	ds_write2_b32 v34, v33, v47 offset0:18 offset1:27
	ds_write2_b32 v34, v48, v49 offset0:36 offset1:45
	ds_write_b32 v34, v50 offset:216
	s_waitcnt lgkmcnt(0)
	s_barrier
	buffer_gl0_inv
	s_and_saveexec_b32 s1, s0
	s_cbranch_execz .LBB0_19
; %bb.18:
	v_add_nc_u32_e32 v21, 0x400, v31
	v_add_nc_u32_e32 v22, 0x800, v31
	ds_read2_b32 v[0:1], v31 offset1:63
	ds_read2_b32 v[17:18], v31 offset0:126 offset1:189
	ds_read2_b32 v[2:3], v27 offset0:124 offset1:187
	;; [unrolled: 1-line block ×5, first 2 shown]
	ds_read_b32 v37, v31 offset:3024
	s_waitcnt lgkmcnt(6)
	v_lshrrev_b32_e32 v25, 16, v0
	v_lshrrev_b32_e32 v29, 16, v1
	s_waitcnt lgkmcnt(5)
	v_lshrrev_b32_e32 v46, 16, v17
	v_lshrrev_b32_e32 v45, 16, v18
	;; [unrolled: 3-line block ×6, first 2 shown]
	s_waitcnt lgkmcnt(0)
	v_lshrrev_b32_e32 v39, 16, v37
.LBB0_19:
	s_or_b32 exec_lo, exec_lo, s1
	s_and_saveexec_b32 s1, s0
	s_cbranch_execz .LBB0_21
; %bb.20:
	v_mul_f16_sdwa v28, v8, v29 dst_sel:DWORD dst_unused:UNUSED_PAD src0_sel:WORD_1 src1_sel:DWORD
	v_mul_f16_sdwa v26, v15, v39 dst_sel:DWORD dst_unused:UNUSED_PAD src0_sel:WORD_1 src1_sel:DWORD
	v_mul_f16_sdwa v34, v8, v1 dst_sel:DWORD dst_unused:UNUSED_PAD src0_sel:WORD_1 src1_sel:DWORD
	v_mul_f16_sdwa v30, v9, v46 dst_sel:DWORD dst_unused:UNUSED_PAD src0_sel:WORD_1 src1_sel:DWORD
	v_mul_f16_sdwa v27, v14, v36 dst_sel:DWORD dst_unused:UNUSED_PAD src0_sel:WORD_1 src1_sel:DWORD
	v_mul_f16_sdwa v33, v15, v37 dst_sel:DWORD dst_unused:UNUSED_PAD src0_sel:WORD_1 src1_sel:DWORD
	v_fmac_f16_e32 v28, v8, v1
	v_fmac_f16_e32 v26, v15, v37
	v_fma_f16 v29, v8, v29, -v34
	v_mul_f16_sdwa v34, v14, v22 dst_sel:DWORD dst_unused:UNUSED_PAD src0_sel:WORD_1 src1_sel:DWORD
	v_fmac_f16_e32 v30, v9, v17
	v_fmac_f16_e32 v27, v14, v22
	v_mul_f16_sdwa v17, v9, v17 dst_sel:DWORD dst_unused:UNUSED_PAD src0_sel:WORD_1 src1_sel:DWORD
	v_mul_f16_sdwa v22, v13, v38 dst_sel:DWORD dst_unused:UNUSED_PAD src0_sel:WORD_1 src1_sel:DWORD
	v_fma_f16 v15, v15, v39, -v33
	v_sub_f16_e32 v8, v28, v26
	v_mul_f16_sdwa v33, v10, v45 dst_sel:DWORD dst_unused:UNUSED_PAD src0_sel:WORD_1 src1_sel:DWORD
	v_fma_f16 v14, v14, v36, -v34
	v_fma_f16 v36, v9, v46, -v17
	v_fmac_f16_e32 v22, v13, v21
	v_mul_f16_sdwa v17, v13, v21 dst_sel:DWORD dst_unused:UNUSED_PAD src0_sel:WORD_1 src1_sel:DWORD
	v_mul_f16_sdwa v21, v10, v18 dst_sel:DWORD dst_unused:UNUSED_PAD src0_sel:WORD_1 src1_sel:DWORD
	v_add_f16_e32 v39, v15, v29
	v_mul_f16_e32 v47, 0xb94e, v8
	v_sub_f16_e32 v1, v30, v27
	v_fmac_f16_e32 v33, v10, v18
	v_fma_f16 v18, v13, v38, -v17
	v_fma_f16 v37, v10, v45, -v21
	v_mul_f16_sdwa v38, v11, v44 dst_sel:DWORD dst_unused:UNUSED_PAD src0_sel:WORD_1 src1_sel:DWORD
	v_mul_f16_sdwa v21, v12, v35 dst_sel:DWORD dst_unused:UNUSED_PAD src0_sel:WORD_1 src1_sel:DWORD
	v_fmamk_f16 v48, v39, 0xb9fd, v47
	v_mul_f16_e32 v46, 0x3bf1, v1
	v_add_f16_e32 v49, v14, v36
	v_sub_f16_e32 v9, v33, v22
	v_fmac_f16_e32 v38, v11, v2
	v_fmac_f16_e32 v21, v12, v20
	v_mul_f16_sdwa v17, v12, v20 dst_sel:DWORD dst_unused:UNUSED_PAD src0_sel:WORD_1 src1_sel:DWORD
	v_mul_f16_sdwa v50, v11, v2 dst_sel:DWORD dst_unused:UNUSED_PAD src0_sel:WORD_1 src1_sel:DWORD
	;; [unrolled: 1-line block ×4, first 2 shown]
	v_add_f16_e32 v10, v25, v48
	v_fmamk_f16 v13, v49, 0x2fb7, v46
	v_mul_f16_e32 v45, 0xba95, v9
	v_add_f16_e32 v48, v18, v37
	v_sub_f16_e32 v2, v38, v21
	v_fma_f16 v20, v12, v35, -v17
	v_fma_f16 v44, v11, v44, -v50
	v_fmac_f16_e32 v51, v4, v3
	v_fmac_f16_e32 v34, v7, v19
	v_mul_f16_sdwa v11, v7, v19 dst_sel:DWORD dst_unused:UNUSED_PAD src0_sel:WORD_1 src1_sel:DWORD
	v_mul_f16_sdwa v12, v4, v3 dst_sel:DWORD dst_unused:UNUSED_PAD src0_sel:WORD_1 src1_sel:DWORD
	v_add_f16_e32 v10, v13, v10
	v_fmamk_f16 v13, v48, 0x388b, v45
	v_mul_f16_e32 v50, 0x33a8, v2
	v_add_f16_e32 v52, v20, v44
	v_sub_f16_e32 v3, v51, v34
	v_fma_f16 v35, v7, v42, -v11
	v_fma_f16 v42, v4, v43, -v12
	v_add_f16_e32 v4, v13, v10
	v_fmamk_f16 v7, v52, 0xbbc4, v50
	v_mul_f16_e32 v43, 0x3770, v3
	v_mul_f16_sdwa v54, v5, v40 dst_sel:DWORD dst_unused:UNUSED_PAD src0_sel:WORD_1 src1_sel:DWORD
	v_add_f16_e32 v53, v35, v42
	v_mul_f16_sdwa v55, v6, v41 dst_sel:DWORD dst_unused:UNUSED_PAD src0_sel:WORD_1 src1_sel:DWORD
	v_add_f16_e32 v4, v7, v4
	v_sub_f16_e32 v56, v29, v15
	v_fmac_f16_e32 v54, v5, v23
	v_fmamk_f16 v7, v53, 0x3b15, v43
	v_fmac_f16_e32 v55, v6, v24
	v_sub_f16_e32 v58, v36, v14
	v_mul_f16_e32 v57, 0xb94e, v56
	v_mul_f16_sdwa v11, v6, v24 dst_sel:DWORD dst_unused:UNUSED_PAD src0_sel:WORD_1 src1_sel:DWORD
	v_add_f16_e32 v12, v7, v4
	v_add_f16_e32 v7, v26, v28
	v_mul_f16_sdwa v13, v5, v23 dst_sel:DWORD dst_unused:UNUSED_PAD src0_sel:WORD_1 src1_sel:DWORD
	v_sub_f16_e32 v4, v54, v55
	v_add_f16_e32 v10, v27, v30
	v_mul_f16_e32 v24, 0x3bf1, v58
	v_fma_f16 v17, v7, 0xb9fd, -v57
	v_fma_f16 v41, v6, v41, -v11
	v_sub_f16_e32 v59, v37, v18
	v_fma_f16 v40, v5, v40, -v13
	v_fma_f16 v11, v10, 0x2fb7, -v24
	v_add_f16_e32 v5, v0, v17
	v_add_f16_e32 v6, v22, v33
	v_mul_f16_e32 v60, 0xba95, v59
	v_mul_f16_e32 v61, 0xbb7b, v4
	v_sub_f16_e32 v62, v44, v20
	v_add_f16_e32 v63, v41, v40
	v_add_f16_e32 v5, v11, v5
	v_fma_f16 v13, v6, 0x388b, -v60
	v_add_f16_e32 v11, v21, v38
	v_mul_f16_e32 v64, 0x33a8, v62
	v_fmamk_f16 v17, v63, 0xb5ac, v61
	v_sub_f16_e32 v65, v42, v35
	v_add_f16_e32 v13, v13, v5
	v_mul_f16_e32 v23, 0xb3a8, v8
	v_fma_f16 v19, v11, 0xbbc4, -v64
	v_add_f16_e32 v5, v17, v12
	v_add_f16_e32 v12, v34, v51
	v_mul_f16_e32 v66, 0x3770, v65
	v_sub_f16_e32 v67, v40, v41
	v_add_f16_e32 v17, v19, v13
	v_fmamk_f16 v19, v39, 0xbbc4, v23
	v_mul_f16_e32 v68, 0x3770, v1
	v_fma_f16 v69, v12, 0x3b15, -v66
	v_add_f16_e32 v13, v55, v54
	v_mul_f16_e32 v70, 0xbb7b, v67
	v_add_f16_e32 v19, v25, v19
	v_fmamk_f16 v71, v49, 0x3b15, v68
	v_mul_f16_e32 v72, 0xb94e, v9
	v_add_f16_e32 v17, v69, v17
	v_fma_f16 v69, v13, 0xb5ac, -v70
	v_mul_f16_e32 v73, 0xb3a8, v56
	v_add_f16_e32 v19, v71, v19
	v_fmamk_f16 v71, v48, 0xb9fd, v72
	v_mul_f16_e32 v74, 0x3a95, v2
	v_add_f16_e32 v17, v69, v17
	v_fma_f16 v69, v7, 0xbbc4, -v73
	;; [unrolled: 6-line block ×3, first 2 shown]
	v_mul_f16_e32 v78, 0xb94e, v59
	v_fma_f16 v47, v39, 0xb9fd, -v47
	v_add_f16_e32 v19, v71, v19
	v_fmamk_f16 v71, v53, 0xb5ac, v76
	v_mul_f16_e32 v79, 0x3bf1, v4
	v_add_f16_e32 v69, v77, v69
	v_fma_f16 v77, v6, 0xb9fd, -v78
	v_mul_f16_e32 v80, 0x3a95, v62
	v_fma_f16 v23, v39, 0xbbc4, -v23
	v_add_f16_e32 v47, v25, v47
	v_fma_f16 v46, v49, 0x2fb7, -v46
	v_add_f16_e32 v19, v71, v19
	v_fmamk_f16 v71, v63, 0x2fb7, v79
	v_add_f16_e32 v69, v77, v69
	v_fma_f16 v77, v11, 0x388b, -v80
	v_mul_f16_e32 v81, 0xbb7b, v65
	v_add_f16_e32 v23, v25, v23
	v_fma_f16 v68, v49, 0x3b15, -v68
	v_add_f16_e32 v46, v46, v47
	v_fma_f16 v45, v48, 0x388b, -v45
	v_fmac_f16_e32 v57, 0xb9fd, v7
	v_add_f16_e32 v19, v71, v19
	v_add_f16_e32 v69, v77, v69
	v_fma_f16 v71, v12, 0xb5ac, -v81
	v_mul_f16_e32 v77, 0x3bf1, v67
	v_fmac_f16_e32 v73, 0xbbc4, v7
	v_add_f16_e32 v23, v68, v23
	v_fma_f16 v68, v48, 0xb9fd, -v72
	v_add_f16_e32 v45, v45, v46
	v_fma_f16 v46, v52, 0xbbc4, -v50
	v_add_f16_e32 v50, v0, v57
	v_fmac_f16_e32 v24, 0x2fb7, v10
	v_add_f16_e32 v69, v71, v69
	v_fma_f16 v71, v13, 0x2fb7, -v77
	v_add_f16_e32 v72, v0, v73
	v_fmac_f16_e32 v75, 0x3b15, v10
	v_add_f16_e32 v68, v68, v23
	v_fma_f16 v73, v52, 0x388b, -v74
	v_add_f16_e32 v45, v46, v45
	v_fma_f16 v43, v53, 0x3b15, -v43
	v_add_f16_e32 v24, v24, v50
	v_fmac_f16_e32 v60, 0x388b, v6
	v_add_f16_e32 v23, v71, v69
	v_add_f16_e32 v69, v75, v72
	v_fmac_f16_e32 v78, 0xb9fd, v6
	v_add_f16_e32 v68, v73, v68
	v_fma_f16 v71, v53, 0xb5ac, -v76
	v_add_f16_e32 v43, v43, v45
	v_add_f16_e32 v24, v60, v24
	v_fmac_f16_e32 v64, 0xbbc4, v11
	v_fma_f16 v61, v63, 0xb5ac, -v61
	v_add_f16_e32 v69, v78, v69
	v_fmac_f16_e32 v80, 0x388b, v11
	v_add_f16_e32 v68, v71, v68
	v_fma_f16 v71, v63, 0x2fb7, -v79
	v_add_f16_e32 v24, v64, v24
	v_fmac_f16_e32 v66, 0x3b15, v12
	v_add_f16_e32 v43, v61, v43
	v_mul_f16_e32 v61, 0xbb7b, v56
	v_add_f16_e32 v47, v80, v69
	v_add_f16_e32 v68, v71, v68
	;; [unrolled: 1-line block ×3, first 2 shown]
	v_fmac_f16_e32 v70, 0xb5ac, v13
	v_fmamk_f16 v69, v7, 0xb5ac, v61
	v_mul_f16_e32 v71, 0x394e, v58
	v_mul_f16_e32 v46, 0xb5ac, v39
	;; [unrolled: 1-line block ×3, first 2 shown]
	v_add_f16_e32 v24, v70, v24
	v_add_f16_e32 v69, v0, v69
	v_fmamk_f16 v70, v10, 0xb9fd, v71
	v_fmamk_f16 v50, v8, 0x3b7b, v46
	v_mul_f16_e32 v57, 0xb9fd, v49
	v_mul_f16_e32 v74, 0xbbf1, v62
	;; [unrolled: 1-line block ×3, first 2 shown]
	v_add_f16_e32 v69, v70, v69
	v_fmamk_f16 v70, v6, 0x3b15, v72
	v_add_f16_e32 v45, v25, v50
	v_fmamk_f16 v50, v1, 0xb94e, v57
	v_mul_f16_e32 v78, 0x33a8, v65
	v_fmac_f16_e32 v81, 0xb5ac, v12
	v_add_f16_e32 v69, v70, v69
	v_fmamk_f16 v70, v11, 0x2fb7, v74
	v_add_f16_e32 v45, v50, v45
	v_fmamk_f16 v50, v9, 0xb770, v60
	v_mul_f16_e32 v64, 0x2fb7, v52
	v_add_f16_e32 v47, v81, v47
	v_add_f16_e32 v69, v70, v69
	v_fmamk_f16 v70, v12, 0xbbc4, v78
	v_add_f16_e32 v45, v50, v45
	v_fmamk_f16 v50, v2, 0x3bf1, v64
	v_mul_f16_e32 v66, 0xbbc4, v53
	v_mul_f16_e32 v81, 0xbbf1, v56
	v_add_f16_e32 v69, v70, v69
	v_mul_f16_e32 v70, 0x3a95, v67
	v_fmac_f16_e32 v77, 0x2fb7, v13
	v_add_f16_e32 v45, v50, v45
	v_fmamk_f16 v50, v3, 0xb3a8, v66
	v_mul_f16_e32 v73, 0x2fb7, v39
	v_fmamk_f16 v83, v13, 0x388b, v70
	v_fmamk_f16 v84, v7, 0x2fb7, v81
	v_mul_f16_e32 v85, 0xb3a8, v58
	v_add_f16_e32 v47, v77, v47
	v_add_f16_e32 v45, v50, v45
	v_mul_f16_e32 v50, 0x388b, v63
	v_fmamk_f16 v76, v8, 0x3bf1, v73
	v_mul_f16_e32 v77, 0xbbc4, v49
	v_add_f16_e32 v69, v83, v69
	v_add_f16_e32 v83, v0, v84
	v_fmamk_f16 v84, v10, 0xbbc4, v85
	v_mul_f16_e32 v86, 0x3b7b, v59
	v_fmamk_f16 v75, v4, 0xba95, v50
	v_add_f16_e32 v76, v25, v76
	v_fmamk_f16 v79, v1, 0x33a8, v77
	v_mul_f16_e32 v80, 0xb5ac, v48
	v_add_f16_e32 v83, v84, v83
	v_fmamk_f16 v84, v6, 0xb5ac, v86
	v_mul_f16_e32 v88, 0x3770, v62
	v_add_f16_e32 v45, v75, v45
	v_add_f16_e32 v75, v79, v76
	v_fmamk_f16 v76, v9, 0xbb7b, v80
	v_mul_f16_e32 v79, 0x3b15, v52
	v_add_f16_e32 v83, v84, v83
	v_fmamk_f16 v84, v11, 0x3b15, v88
	v_mul_f16_e32 v92, 0xba95, v65
	;; [unrolled: 3-line block ×5, first 2 shown]
	v_add_f16_e32 v83, v84, v83
	v_mul_f16_e32 v84, 0xb94e, v67
	v_fmamk_f16 v90, v8, 0x3a95, v87
	v_add_f16_e32 v75, v76, v75
	v_mul_f16_e32 v76, 0xb9fd, v63
	v_mul_f16_e32 v91, 0xb5ac, v49
	v_fmamk_f16 v97, v13, 0xb9fd, v84
	v_fmamk_f16 v98, v7, 0x388b, v95
	v_mul_f16_e32 v99, 0xbb7b, v58
	v_fmamk_f16 v89, v4, 0x394e, v76
	v_add_f16_e32 v90, v25, v90
	v_fmamk_f16 v93, v1, 0x3b7b, v91
	v_mul_f16_e32 v94, 0xbbc4, v48
	v_add_f16_e32 v83, v97, v83
	v_add_f16_e32 v97, v0, v98
	v_fmamk_f16 v98, v10, 0xb5ac, v99
	v_mul_f16_e32 v100, 0xb3a8, v59
	v_add_f16_e32 v75, v89, v75
	v_add_f16_e32 v89, v93, v90
	v_fmamk_f16 v90, v9, 0x33a8, v94
	v_mul_f16_e32 v93, 0xb9fd, v52
	v_mul_f16_e32 v39, 0x3b15, v39
	v_add_f16_e32 v97, v98, v97
	v_fmamk_f16 v98, v6, 0xbbc4, v100
	v_mul_f16_e32 v101, 0x394e, v62
	v_add_f16_e32 v89, v90, v89
	v_fmamk_f16 v90, v2, 0xb94e, v93
	v_mul_f16_e32 v96, 0x2fb7, v53
	v_fmamk_f16 v103, v8, 0x3770, v39
	v_mul_f16_e32 v49, 0x388b, v49
	v_add_f16_e32 v97, v98, v97
	v_fmamk_f16 v98, v11, 0xb9fd, v101
	v_mul_f16_e32 v104, 0x3bf1, v65
	v_add_f16_e32 v89, v90, v89
	v_fmamk_f16 v90, v3, 0xbbf1, v96
	v_add_f16_e32 v103, v25, v103
	v_fmamk_f16 v105, v1, 0x3a95, v49
	v_mul_f16_e32 v48, 0x2fb7, v48
	v_add_f16_e32 v97, v98, v97
	v_fmamk_f16 v98, v12, 0x2fb7, v104
	v_mul_f16_e32 v106, 0x3770, v67
	v_add_f16_e32 v28, v0, v28
	v_add_f16_e32 v89, v90, v89
	v_mul_f16_e32 v90, 0x3b15, v63
	v_add_f16_e32 v103, v105, v103
	v_fmamk_f16 v105, v9, 0x3bf1, v48
	v_mul_f16_e32 v52, 0xb5ac, v52
	v_add_f16_e32 v97, v98, v97
	v_fmamk_f16 v98, v13, 0x3b15, v106
	v_mul_f16_e32 v56, 0xb770, v56
	v_add_f16_e32 v28, v30, v28
	v_add_f16_e32 v29, v29, v25
	v_fmamk_f16 v102, v4, 0xb770, v90
	v_add_f16_e32 v103, v105, v103
	v_fmamk_f16 v105, v2, 0x3b7b, v52
	;; [unrolled: 2-line block ×3, first 2 shown]
	v_mul_f16_e32 v58, 0xba95, v58
	v_add_f16_e32 v28, v33, v28
	v_add_f16_e32 v29, v36, v29
	;; [unrolled: 1-line block ×5, first 2 shown]
	v_fmamk_f16 v103, v10, 0x388b, v58
	v_mul_f16_e32 v59, 0xbbf1, v59
	v_add_f16_e32 v28, v38, v28
	v_add_f16_e32 v29, v37, v29
	v_mul_f16_e32 v62, 0xbb7b, v62
	v_add_f16_e32 v30, v103, v98
	v_fmamk_f16 v98, v6, 0x2fb7, v59
	v_add_f16_e32 v28, v51, v28
	v_add_f16_e32 v29, v44, v29
	v_fmamk_f16 v36, v11, 0xb5ac, v62
	v_mul_f16_e32 v37, 0xb94e, v65
	v_add_f16_e32 v30, v98, v30
	v_add_f16_e32 v28, v54, v28
	;; [unrolled: 1-line block ×3, first 2 shown]
	v_mul_f16_e32 v44, 0xb3a8, v67
	v_fmac_f16_e32 v46, 0xbb7b, v8
	v_add_f16_e32 v30, v36, v30
	v_fmamk_f16 v36, v12, 0xb9fd, v37
	v_add_f16_e32 v28, v55, v28
	v_add_f16_e32 v29, v40, v29
	v_fmac_f16_e32 v57, 0x394e, v1
	v_fmac_f16_e32 v60, 0x3770, v9
	v_add_f16_e32 v30, v36, v30
	v_fmamk_f16 v36, v13, 0xbbc4, v44
	v_add_f16_e32 v28, v34, v28
	v_add_f16_e32 v29, v41, v29
	v_add_f16_e32 v34, v25, v46
	v_fma_f16 v40, v10, 0xb9fd, -v71
	v_add_f16_e32 v30, v36, v30
	v_fma_f16 v36, v7, 0xb5ac, -v61
	v_add_f16_e32 v21, v21, v28
	v_add_f16_e32 v28, v35, v29
	;; [unrolled: 1-line block ×3, first 2 shown]
	v_fmac_f16_e32 v64, 0xbbf1, v2
	v_add_f16_e32 v36, v0, v36
	v_add_f16_e32 v21, v22, v21
	v_add_f16_e32 v20, v20, v28
	v_add_f16_e32 v22, v60, v29
	v_fma_f16 v35, v6, 0x3b15, -v72
	v_add_f16_e32 v34, v40, v36
	v_fmac_f16_e32 v66, 0x33a8, v3
	v_add_f16_e32 v18, v18, v20
	v_add_f16_e32 v20, v64, v22
	v_fma_f16 v29, v11, 0x2fb7, -v74
	v_add_f16_e32 v28, v35, v34
	v_fmac_f16_e32 v50, 0x3a95, v4
	v_add_f16_e32 v14, v14, v18
	v_add_f16_e32 v18, v66, v20
	;; [unrolled: 1-line block ×4, first 2 shown]
	v_fma_f16 v27, v12, 0xbbc4, -v78
	v_add_f16_e32 v14, v15, v14
	v_add_f16_e32 v15, v50, v18
	v_fma_f16 v18, v7, 0x2fb7, -v81
	v_fmac_f16_e32 v87, 0xba95, v8
	v_add_f16_e32 v21, v26, v21
	v_add_f16_e32 v20, v27, v22
	v_fma_f16 v26, v10, 0xbbc4, -v85
	v_add_f16_e32 v18, v0, v18
	v_add_f16_e32 v27, v25, v87
	v_fmac_f16_e32 v91, 0xbb7b, v1
	v_fmac_f16_e32 v94, 0xb3a8, v9
	;; [unrolled: 1-line block ×3, first 2 shown]
	v_add_f16_e32 v18, v26, v18
	v_fma_f16 v26, v6, 0xb5ac, -v86
	v_add_f16_e32 v27, v91, v27
	v_fmac_f16_e32 v96, 0x3bf1, v3
	v_fma_f16 v22, v13, 0x388b, -v70
	v_fmac_f16_e32 v73, 0xbbf1, v8
	v_add_f16_e32 v18, v26, v18
	v_fma_f16 v26, v11, 0x3b15, -v88
	v_add_f16_e32 v27, v94, v27
	v_fmac_f16_e32 v90, 0x3770, v4
	v_fma_f16 v28, v7, 0x388b, -v95
	v_fmac_f16_e32 v39, 0xb770, v8
	v_add_f16_e32 v18, v26, v18
	v_fma_f16 v26, v12, 0x388b, -v92
	v_add_f16_e32 v27, v93, v27
	v_fma_f16 v7, v7, 0x3b15, -v56
	v_add_f16_e32 v20, v22, v20
	v_add_f16_e32 v22, v25, v73
	v_add_f16_e32 v18, v26, v18
	v_fma_f16 v26, v13, 0xb9fd, -v84
	v_add_f16_e32 v27, v96, v27
	v_fmac_f16_e32 v77, 0xb3a8, v1
	v_add_f16_e32 v25, v25, v39
	v_fmac_f16_e32 v49, 0xba95, v1
	v_add_f16_e32 v18, v26, v18
	v_add_f16_e32 v8, v90, v27
	;; [unrolled: 1-line block ×3, first 2 shown]
	v_fma_f16 v27, v10, 0xb5ac, -v99
	v_add_f16_e32 v0, v0, v7
	v_fma_f16 v1, v10, 0x388b, -v58
	v_mul_f16_e32 v53, 0xb9fd, v53
	v_add_f16_e32 v22, v77, v22
	v_fmac_f16_e32 v80, 0x3b7b, v9
	v_add_f16_e32 v7, v27, v26
	v_fma_f16 v10, v6, 0xbbc4, -v100
	v_add_f16_e32 v25, v49, v25
	v_fmac_f16_e32 v48, 0xbbf1, v9
	v_add_f16_e32 v0, v1, v0
	v_fma_f16 v1, v6, 0x2fb7, -v59
	v_fmamk_f16 v105, v3, 0x394e, v53
	v_mul_f16_e32 v38, 0xbbc4, v63
	v_add_f16_e32 v22, v80, v22
	v_fmac_f16_e32 v79, 0x3770, v2
	v_add_f16_e32 v6, v10, v7
	v_fma_f16 v7, v11, 0xb9fd, -v101
	v_add_f16_e32 v9, v48, v25
	v_fmac_f16_e32 v52, 0xbb7b, v2
	v_add_f16_e32 v0, v1, v0
	v_fma_f16 v1, v11, 0xb5ac, -v62
	v_add_f16_e32 v33, v105, v102
	v_fmamk_f16 v51, v4, 0x33a8, v38
	v_add_f16_e32 v22, v79, v22
	v_fmac_f16_e32 v82, 0xba95, v3
	v_add_f16_e32 v2, v7, v6
	v_fma_f16 v6, v12, 0x2fb7, -v104
	v_add_f16_e32 v7, v52, v9
	v_fmac_f16_e32 v53, 0xb94e, v3
	v_add_f16_e32 v0, v1, v0
	v_fma_f16 v1, v12, 0xb9fd, -v37
	v_add_f16_e32 v33, v51, v33
	v_add_f16_e32 v22, v82, v22
	v_fmac_f16_e32 v76, 0xb94e, v4
	v_add_f16_e32 v2, v6, v2
	v_fma_f16 v3, v13, 0x3b15, -v106
	v_add_f16_e32 v6, v53, v7
	v_fmac_f16_e32 v38, 0xb3a8, v4
	v_add_f16_e32 v0, v1, v0
	v_fma_f16 v1, v13, 0xbbc4, -v44
	v_pack_b32_f16 v4, v21, v14
	v_pack_b32_f16 v7, v30, v33
	;; [unrolled: 1-line block ×4, first 2 shown]
	v_add_f16_e32 v22, v76, v22
	v_add_f16_e32 v2, v3, v2
	v_add_f16_e32 v3, v38, v6
	v_add_f16_e32 v0, v1, v0
	ds_write2_b32 v31, v4, v7 offset1:63
	ds_write2_b32 v31, v9, v10 offset0:126 offset1:189
	v_pack_b32_f16 v1, v69, v45
	v_pack_b32_f16 v4, v24, v43
	v_add_nc_u32_e32 v6, 0x200, v31
	v_pack_b32_f16 v7, v47, v68
	v_pack_b32_f16 v9, v23, v19
	v_add_nc_u32_e32 v10, 0x400, v31
	;; [unrolled: 3-line block ×4, first 2 shown]
	v_pack_b32_f16 v0, v0, v3
	ds_write2_b32 v6, v1, v4 offset0:124 offset1:187
	ds_write2_b32 v10, v7, v9 offset0:122 offset1:185
	;; [unrolled: 1-line block ×4, first 2 shown]
	ds_write_b32 v31, v0 offset:3024
.LBB0_21:
	s_or_b32 exec_lo, exec_lo, s1
	s_waitcnt lgkmcnt(0)
	s_barrier
	buffer_gl0_inv
	s_and_b32 exec_lo, exec_lo, vcc_lo
	s_cbranch_execz .LBB0_23
; %bb.22:
	s_clause 0x5
	global_load_dword v2, v31, s[10:11]
	global_load_dword v3, v31, s[10:11] offset:364
	global_load_dword v7, v31, s[10:11] offset:728
	;; [unrolled: 1-line block ×5, first 2 shown]
	v_mad_u64_u32 v[8:9], null, s6, v16, 0
	v_mad_u64_u32 v[10:11], null, s4, v32, 0
	ds_read_b32 v22, v31
	v_add_nc_u32_e32 v1, 0x400, v31
	ds_read2_b32 v[12:13], v31 offset0:91 offset1:182
	v_add_co_u32 v6, s0, s10, v31
	v_mov_b32_e32 v0, v9
	ds_read2_b32 v[14:15], v1 offset0:17 offset1:108
	v_mov_b32_e32 v1, v11
	v_add_co_ci_u32_e64 v17, null, s11, 0, s0
	v_add_nc_u32_e32 v9, 0x600, v31
	s_mov_b32 s18, 0x14014014
	v_mad_u64_u32 v[4:5], null, s7, v16, v[0:1]
	v_add_co_u32 v16, vcc_lo, 0x800, v6
	v_add_co_ci_u32_e32 v17, vcc_lo, 0, v17, vcc_lo
	s_mov_b32 s19, 0x3f540140
	s_mul_i32 s0, s5, 0x16c
	s_mul_hi_u32 s20, s4, 0x16c
	s_mul_i32 s17, s4, 0x16c
	s_add_i32 s20, s20, s0
	s_waitcnt lgkmcnt(0)
	v_lshrrev_b32_e32 v23, 16, v15
	s_waitcnt vmcnt(5)
	v_mad_u64_u32 v[18:19], null, s5, v32, v[1:2]
	ds_read2_b32 v[0:1], v9 offset0:71 offset1:162
	v_mov_b32_e32 v9, v4
	s_clause 0x2
	global_load_dword v5, v[16:17], off offset:136
	global_load_dword v4, v[16:17], off offset:500
	;; [unrolled: 1-line block ×3, first 2 shown]
	v_lshrrev_b32_e32 v16, 16, v22
	v_lshrrev_b32_e32 v17, 16, v12
	v_mul_f16_sdwa v25, v22, v2 dst_sel:DWORD dst_unused:UNUSED_PAD src0_sel:DWORD src1_sel:WORD_1
	s_waitcnt vmcnt(7)
	v_mul_f16_sdwa v27, v12, v3 dst_sel:DWORD dst_unused:UNUSED_PAD src0_sel:DWORD src1_sel:WORD_1
	v_mov_b32_e32 v11, v18
	v_mul_f16_sdwa v24, v16, v2 dst_sel:DWORD dst_unused:UNUSED_PAD src0_sel:DWORD src1_sel:WORD_1
	v_mul_f16_sdwa v26, v17, v3 dst_sel:DWORD dst_unused:UNUSED_PAD src0_sel:DWORD src1_sel:WORD_1
	v_lshrrev_b32_e32 v18, 16, v13
	v_lshrrev_b32_e32 v19, 16, v14
	s_waitcnt vmcnt(6)
	v_mul_f16_sdwa v29, v13, v7 dst_sel:DWORD dst_unused:UNUSED_PAD src0_sel:DWORD src1_sel:WORD_1
	v_fmac_f16_e32 v24, v22, v2
	v_fma_f16 v2, v2, v16, -v25
	v_fmac_f16_e32 v26, v12, v3
	v_fma_f16 v16, v3, v17, -v27
	v_mul_f16_sdwa v28, v18, v7 dst_sel:DWORD dst_unused:UNUSED_PAD src0_sel:DWORD src1_sel:WORD_1
	v_cvt_f32_f16_e32 v3, v24
	s_waitcnt vmcnt(5)
	v_mul_f16_sdwa v32, v19, v20 dst_sel:DWORD dst_unused:UNUSED_PAD src0_sel:DWORD src1_sel:WORD_1
	v_cvt_f32_f16_e32 v12, v2
	s_waitcnt lgkmcnt(0)
	v_lshrrev_b32_e32 v34, 16, v0
	v_mul_f16_sdwa v33, v14, v20 dst_sel:DWORD dst_unused:UNUSED_PAD src0_sel:DWORD src1_sel:WORD_1
	v_cvt_f64_f32_e32 v[2:3], v3
	s_waitcnt vmcnt(4)
	v_mul_f16_sdwa v35, v23, v21 dst_sel:DWORD dst_unused:UNUSED_PAD src0_sel:DWORD src1_sel:WORD_1
	v_fmac_f16_e32 v28, v13, v7
	v_fmac_f16_e32 v32, v14, v20
	v_cvt_f64_f32_e32 v[12:13], v12
	v_cvt_f32_f16_e32 v14, v26
	v_mul_f16_sdwa v36, v15, v21 dst_sel:DWORD dst_unused:UNUSED_PAD src0_sel:DWORD src1_sel:WORD_1
	s_waitcnt vmcnt(3)
	v_mul_f16_sdwa v37, v34, v30 dst_sel:DWORD dst_unused:UNUSED_PAD src0_sel:DWORD src1_sel:WORD_1
	v_fmac_f16_e32 v35, v15, v21
	v_cvt_f32_f16_e32 v16, v16
	v_cvt_f64_f32_e32 v[14:15], v14
	v_mul_f16_sdwa v38, v0, v30 dst_sel:DWORD dst_unused:UNUSED_PAD src0_sel:DWORD src1_sel:WORD_1
	v_fma_f16 v7, v7, v18, -v29
	v_fma_f16 v18, v20, v19, -v33
	;; [unrolled: 1-line block ×3, first 2 shown]
	v_fmac_f16_e32 v37, v0, v30
	v_cvt_f32_f16_e32 v0, v28
	v_cvt_f64_f32_e32 v[16:17], v16
	v_lshlrev_b64 v[8:9], 2, v[8:9]
	v_cvt_f32_f16_e32 v7, v7
	v_cvt_f32_f16_e32 v24, v18
	;; [unrolled: 1-line block ×3, first 2 shown]
	v_cvt_f64_f32_e32 v[18:19], v0
	v_mul_f64 v[2:3], v[2:3], s[18:19]
	v_lshlrev_b64 v[10:11], 2, v[10:11]
	v_cvt_f32_f16_e32 v22, v32
	v_cvt_f64_f32_e32 v[20:21], v7
	v_add_co_u32 v8, vcc_lo, s8, v8
	v_mul_f64 v[12:13], v[12:13], s[18:19]
	v_add_co_ci_u32_e32 v9, vcc_lo, s9, v9, vcc_lo
	v_cvt_f64_f32_e32 v[22:23], v22
	v_add_co_u32 v8, vcc_lo, v8, v10
	v_mul_f64 v[14:15], v[14:15], s[18:19]
	v_add_co_ci_u32_e32 v9, vcc_lo, v9, v11, vcc_lo
	v_fma_f16 v0, v30, v34, -v38
	v_cvt_f32_f16_e32 v26, v35
	v_cvt_f64_f32_e32 v[24:25], v24
	v_add_co_u32 v10, vcc_lo, v8, s17
	v_mul_f64 v[16:17], v[16:17], s[18:19]
	v_add_co_ci_u32_e32 v11, vcc_lo, s20, v9, vcc_lo
	v_cvt_f32_f16_e32 v0, v0
	v_cvt_f64_f32_e32 v[26:27], v26
	v_add_co_u32 v34, vcc_lo, v10, s17
	v_mul_f64 v[18:19], v[18:19], s[18:19]
	v_add_co_ci_u32_e32 v35, vcc_lo, s20, v11, vcc_lo
	v_cvt_f64_f32_e32 v[38:39], v0
	v_and_or_b32 v0, 0x1ff, v3, v2
	v_cvt_f32_f16_e32 v32, v37
	v_cvt_f64_f32_e32 v[28:29], v28
	v_add_co_u32 v36, vcc_lo, v34, s17
	v_mul_f64 v[20:21], v[20:21], s[18:19]
	v_add_co_ci_u32_e32 v37, vcc_lo, s20, v35, vcc_lo
	v_and_or_b32 v12, 0x1ff, v13, v12
	v_cmp_ne_u32_e32 vcc_lo, 0, v0
	v_cvt_f64_f32_e32 v[32:33], v32
	v_mul_f64 v[22:23], v[22:23], s[18:19]
	v_and_or_b32 v14, 0x1ff, v15, v14
	v_mul_f64 v[24:25], v[24:25], s[18:19]
	v_cndmask_b32_e64 v0, 0, 1, vcc_lo
	v_cmp_ne_u32_e32 vcc_lo, 0, v12
	v_and_or_b32 v16, 0x1ff, v17, v16
	v_mul_f64 v[26:27], v[26:27], s[18:19]
	v_and_or_b32 v18, 0x1ff, v19, v18
	v_lshrrev_b32_e32 v2, 8, v3
	v_cndmask_b32_e64 v12, 0, 1, vcc_lo
	v_cmp_ne_u32_e32 vcc_lo, 0, v14
	v_bfe_u32 v7, v3, 20, 11
	v_lshrrev_b32_e32 v30, 8, v13
	v_mul_f64 v[28:29], v[28:29], s[18:19]
	v_bfe_u32 v40, v13, 20, 11
	v_cndmask_b32_e64 v14, 0, 1, vcc_lo
	v_cmp_ne_u32_e32 vcc_lo, 0, v16
	v_and_or_b32 v20, 0x1ff, v21, v20
	v_and_or_b32 v0, 0xffe, v2, v0
	v_lshrrev_b32_e32 v41, 8, v15
	v_bfe_u32 v42, v15, 20, 11
	v_cndmask_b32_e64 v16, 0, 1, vcc_lo
	v_cmp_ne_u32_e32 vcc_lo, 0, v18
	v_mul_f64 v[32:33], v[32:33], s[18:19]
	v_and_or_b32 v22, 0x1ff, v23, v22
	v_and_or_b32 v24, 0x1ff, v25, v24
	v_bfe_u32 v44, v17, 20, 11
	v_cndmask_b32_e64 v18, 0, 1, vcc_lo
	v_cmp_ne_u32_e32 vcc_lo, 0, v20
	v_and_or_b32 v26, 0x1ff, v27, v26
	v_sub_nc_u32_e32 v59, 0x3f1, v7
	v_add_nc_u32_e32 v7, 0xfffffc10, v7
	v_sub_nc_u32_e32 v60, 0x3f1, v40
	v_cndmask_b32_e64 v20, 0, 1, vcc_lo
	v_cmp_ne_u32_e32 vcc_lo, 0, v22
	v_and_or_b32 v28, 0x1ff, v29, v28
	v_and_or_b32 v12, 0xffe, v30, v12
	v_lshrrev_b32_e32 v43, 8, v17
	v_bfe_u32 v46, v19, 20, 11
	v_cndmask_b32_e64 v22, 0, 1, vcc_lo
	v_cmp_ne_u32_e32 vcc_lo, 0, v24
	v_bfe_u32 v48, v21, 20, 11
	v_add_nc_u32_e32 v40, 0xfffffc10, v40
	v_sub_nc_u32_e32 v61, 0x3f1, v42
	v_sub_nc_u32_e32 v62, 0x3f1, v44
	v_cndmask_b32_e64 v24, 0, 1, vcc_lo
	v_cmp_ne_u32_e32 vcc_lo, 0, v26
	v_and_or_b32 v32, 0x1ff, v33, v32
	v_med3_i32 v2, v59, 0, 13
	v_med3_i32 v30, v60, 0, 13
	v_and_or_b32 v14, 0xffe, v41, v14
	v_cndmask_b32_e64 v26, 0, 1, vcc_lo
	v_cmp_ne_u32_e32 vcc_lo, 0, v28
	v_or_b32_e32 v59, 0x1000, v0
	v_lshl_or_b32 v60, v7, 12, v0
	v_lshrrev_b32_e32 v45, 8, v19
	v_lshrrev_b32_e32 v47, 8, v21
	v_cndmask_b32_e64 v28, 0, 1, vcc_lo
	v_cmp_ne_u32_e32 vcc_lo, 0, v32
	v_bfe_u32 v50, v23, 20, 11
	v_bfe_u32 v52, v25, 20, 11
	v_add_nc_u32_e32 v42, 0xfffffc10, v42
	v_sub_nc_u32_e32 v63, 0x3f1, v46
	v_cndmask_b32_e64 v32, 0, 1, vcc_lo
	v_cmp_ne_u32_e32 vcc_lo, 0, v0
	v_sub_nc_u32_e32 v64, 0x3f1, v48
	v_med3_i32 v41, v61, 0, 13
	v_and_or_b32 v16, 0xffe, v43, v16
	v_med3_i32 v43, v62, 0, 13
	v_cndmask_b32_e64 v0, 0, 1, vcc_lo
	v_cmp_ne_u32_e32 vcc_lo, 0, v12
	v_or_b32_e32 v61, 0x1000, v12
	v_lshl_or_b32 v62, v40, 12, v12
	v_lshrrev_b32_e32 v49, 8, v23
	v_lshrrev_b32_e32 v51, 8, v25
	v_cndmask_b32_e64 v12, 0, 1, vcc_lo
	v_cmp_ne_u32_e32 vcc_lo, 0, v14
	v_bfe_u32 v54, v27, 20, 11
	v_bfe_u32 v56, v29, 20, 11
	v_add_nc_u32_e32 v44, 0xfffffc10, v44
	v_sub_nc_u32_e32 v65, 0x3f1, v50
	v_sub_nc_u32_e32 v66, 0x3f1, v52
	v_and_or_b32 v18, 0xffe, v45, v18
	v_med3_i32 v45, v63, 0, 13
	v_and_or_b32 v20, 0xffe, v47, v20
	v_med3_i32 v47, v64, 0, 13
	v_or_b32_e32 v63, 0x1000, v14
	v_lshl_or_b32 v64, v42, 12, v14
	v_cndmask_b32_e64 v14, 0, 1, vcc_lo
	v_cmp_ne_u32_e32 vcc_lo, 0, v16
	v_lshrrev_b32_e32 v53, 8, v27
	v_lshrrev_b32_e32 v55, 8, v29
	v_add_nc_u32_e32 v46, 0xfffffc10, v46
	v_sub_nc_u32_e32 v67, 0x3f1, v54
	v_sub_nc_u32_e32 v68, 0x3f1, v56
	v_and_or_b32 v22, 0xffe, v49, v22
	v_med3_i32 v49, v65, 0, 13
	v_and_or_b32 v24, 0xffe, v51, v24
	v_med3_i32 v51, v66, 0, 13
	v_or_b32_e32 v65, 0x1000, v16
	v_lshl_or_b32 v66, v44, 12, v16
	v_cndmask_b32_e64 v16, 0, 1, vcc_lo
	v_cmp_ne_u32_e32 vcc_lo, 0, v18
	v_add_nc_u32_e32 v48, 0xfffffc10, v48
	v_and_or_b32 v26, 0xffe, v53, v26
	v_med3_i32 v53, v67, 0, 13
	v_and_or_b32 v28, 0xffe, v55, v28
	v_med3_i32 v55, v68, 0, 13
	v_or_b32_e32 v67, 0x1000, v18
	v_lshl_or_b32 v68, v46, 12, v18
	v_cndmask_b32_e64 v18, 0, 1, vcc_lo
	v_cmp_ne_u32_e32 vcc_lo, 0, v20
	v_add_nc_u32_e32 v50, 0xfffffc10, v50
	v_or_b32_e32 v69, 0x1000, v20
	v_lshl_or_b32 v70, v48, 12, v20
	v_add_nc_u32_e32 v52, 0xfffffc10, v52
	v_cndmask_b32_e64 v20, 0, 1, vcc_lo
	v_cmp_ne_u32_e32 vcc_lo, 0, v22
	v_or_b32_e32 v71, 0x1000, v22
	v_lshl_or_b32 v72, v50, 12, v22
	v_lshrrev_b32_e32 v79, v2, v59
	v_add_nc_u32_e32 v54, 0xfffffc10, v54
	v_cndmask_b32_e64 v22, 0, 1, vcc_lo
	v_cmp_ne_u32_e32 vcc_lo, 0, v24
	v_or_b32_e32 v73, 0x1000, v24
	v_lshl_or_b32 v74, v52, 12, v24
	v_lshrrev_b32_e32 v80, v30, v61
	v_lshlrev_b32_e32 v2, v2, v79
	v_cndmask_b32_e64 v24, 0, 1, vcc_lo
	v_cmp_ne_u32_e32 vcc_lo, 0, v26
	v_or_b32_e32 v75, 0x1000, v26
	v_lshl_or_b32 v76, v54, 12, v26
	v_lshrrev_b32_e32 v81, v41, v63
	v_lshlrev_b32_e32 v30, v30, v80
	v_cndmask_b32_e64 v26, 0, 1, vcc_lo
	v_cmp_ne_u32_e32 vcc_lo, v2, v59
	v_lshrrev_b32_e32 v82, v43, v65
	v_lshlrev_b32_e32 v41, v41, v81
	v_lshrrev_b32_e32 v83, v45, v67
	v_lshrrev_b32_e32 v84, v47, v69
	v_cndmask_b32_e64 v2, 0, 1, vcc_lo
	v_cmp_ne_u32_e32 vcc_lo, v30, v61
	v_lshlrev_b32_e32 v43, v43, v82
	v_lshlrev_b32_e32 v45, v45, v83
	v_lshrrev_b32_e32 v85, v49, v71
	v_lshlrev_b32_e32 v47, v47, v84
	v_cndmask_b32_e64 v30, 0, 1, vcc_lo
	v_cmp_ne_u32_e32 vcc_lo, v41, v63
	v_lshrrev_b32_e32 v86, v51, v73
	v_lshlrev_b32_e32 v49, v49, v85
	v_or_b32_e32 v77, 0x1000, v28
	v_lshrrev_b32_e32 v87, v53, v75
	v_cndmask_b32_e64 v41, 0, 1, vcc_lo
	v_cmp_ne_u32_e32 vcc_lo, v43, v65
	v_lshlrev_b32_e32 v51, v51, v86
	v_lshrrev_b32_e32 v88, v55, v77
	v_lshlrev_b32_e32 v53, v53, v87
	v_or_b32_e32 v2, v79, v2
	v_cndmask_b32_e64 v43, 0, 1, vcc_lo
	v_cmp_ne_u32_e32 vcc_lo, v45, v67
	v_lshlrev_b32_e32 v55, v55, v88
	v_or_b32_e32 v30, v80, v30
	v_or_b32_e32 v41, v81, v41
	;; [unrolled: 1-line block ×3, first 2 shown]
	v_cndmask_b32_e64 v45, 0, 1, vcc_lo
	v_cmp_ne_u32_e32 vcc_lo, v47, v69
	v_add_nc_u32_e32 v56, 0xfffffc10, v56
	v_lshl_or_b32 v0, v0, 9, 0x7c00
	v_lshl_or_b32 v12, v12, 9, 0x7c00
	v_or_b32_e32 v45, v83, v45
	v_cndmask_b32_e64 v47, 0, 1, vcc_lo
	v_cmp_ne_u32_e32 vcc_lo, v49, v71
	v_lshl_or_b32 v78, v56, 12, v28
	v_lshl_or_b32 v14, v14, 9, 0x7c00
	;; [unrolled: 1-line block ×3, first 2 shown]
	v_or_b32_e32 v47, v84, v47
	v_cndmask_b32_e64 v49, 0, 1, vcc_lo
	v_cmp_ne_u32_e32 vcc_lo, v51, v73
	v_lshl_or_b32 v18, v18, 9, 0x7c00
	v_lshl_or_b32 v20, v20, 9, 0x7c00
	v_lshrrev_b32_e32 v3, 16, v3
	v_or_b32_e32 v49, v85, v49
	v_cndmask_b32_e64 v51, 0, 1, vcc_lo
	v_cmp_ne_u32_e32 vcc_lo, v53, v75
	v_lshrrev_b32_e32 v15, 16, v15
	v_lshl_or_b32 v22, v22, 9, 0x7c00
	v_lshrrev_b32_e32 v17, 16, v17
	v_or_b32_e32 v51, v86, v51
	v_cndmask_b32_e64 v53, 0, 1, vcc_lo
	v_cmp_ne_u32_e32 vcc_lo, v55, v77
	v_lshrrev_b32_e32 v19, 16, v19
	v_lshrrev_b32_e32 v13, 16, v13
	v_lshl_or_b32 v24, v24, 9, 0x7c00
	v_or_b32_e32 v53, v87, v53
	v_cndmask_b32_e64 v55, 0, 1, vcc_lo
	v_cmp_gt_i32_e32 vcc_lo, 1, v7
	v_lshrrev_b32_e32 v21, 16, v21
	v_bfe_u32 v58, v33, 20, 11
	v_lshl_or_b32 v26, v26, 9, 0x7c00
	v_or_b32_e32 v55, v88, v55
	v_cndmask_b32_e32 v2, v60, v2, vcc_lo
	v_cmp_gt_i32_e32 vcc_lo, 1, v40
	v_lshrrev_b32_e32 v23, 16, v23
	v_lshrrev_b32_e32 v57, 8, v33
	;; [unrolled: 1-line block ×3, first 2 shown]
	v_and_b32_e32 v59, 7, v2
	v_cndmask_b32_e32 v30, v62, v30, vcc_lo
	v_cmp_gt_i32_e32 vcc_lo, 1, v42
	v_lshrrev_b32_e32 v2, 2, v2
	v_cmp_eq_u32_e64 s0, 3, v59
	v_and_b32_e32 v60, 7, v30
	v_cndmask_b32_e32 v41, v64, v41, vcc_lo
	v_cmp_gt_i32_e32 vcc_lo, 1, v44
	v_lshrrev_b32_e32 v30, 2, v30
	v_cmp_lt_i32_e64 s1, 5, v60
	v_and_b32_e32 v61, 7, v41
	v_cndmask_b32_e32 v43, v66, v43, vcc_lo
	v_cmp_gt_i32_e32 vcc_lo, 1, v46
	v_cmp_eq_u32_e64 s2, 3, v60
	v_lshrrev_b32_e32 v41, 2, v41
	v_cmp_lt_i32_e64 s3, 5, v61
	v_and_b32_e32 v62, 7, v43
	v_cndmask_b32_e32 v45, v68, v45, vcc_lo
	v_cmp_gt_i32_e32 vcc_lo, 1, v48
	v_cmp_eq_u32_e64 s4, 3, v61
	;; [unrolled: 6-line block ×6, first 2 shown]
	v_lshrrev_b32_e32 v51, 2, v51
	v_cmp_lt_i32_e64 s13, 5, v66
	v_and_b32_e32 v67, 7, v53
	v_cndmask_b32_e32 v55, v78, v55, vcc_lo
	v_cmp_lt_i32_e32 vcc_lo, 5, v59
	v_cmp_eq_u32_e64 s14, 3, v66
	v_lshrrev_b32_e32 v53, 2, v53
	v_cmp_lt_i32_e64 s15, 5, v67
	v_cmp_eq_u32_e64 s16, 3, v67
	s_or_b32 vcc_lo, s0, vcc_lo
	v_and_b32_e32 v68, 7, v55
	v_add_co_ci_u32_e32 v2, vcc_lo, 0, v2, vcc_lo
	s_or_b32 vcc_lo, s2, s1
	v_add_co_ci_u32_e32 v30, vcc_lo, 0, v30, vcc_lo
	s_or_b32 vcc_lo, s4, s3
	v_cmp_eq_u32_e64 s0, 3, v68
	v_add_co_ci_u32_e32 v41, vcc_lo, 0, v41, vcc_lo
	s_or_b32 vcc_lo, s6, s5
	v_add_co_ci_u32_e32 v43, vcc_lo, 0, v43, vcc_lo
	s_or_b32 vcc_lo, s8, s7
	;; [unrolled: 2-line block ×6, first 2 shown]
	v_add_co_ci_u32_e32 v53, vcc_lo, 0, v53, vcc_lo
	v_cmp_gt_i32_e32 vcc_lo, 31, v7
	v_cndmask_b32_e32 v2, 0x7c00, v2, vcc_lo
	v_cmp_gt_i32_e32 vcc_lo, 31, v40
	v_cndmask_b32_e32 v30, 0x7c00, v30, vcc_lo
	;; [unrolled: 2-line block ×8, first 2 shown]
	v_cmp_eq_u32_e32 vcc_lo, 0x40f, v7
	v_cndmask_b32_e32 v0, v2, v0, vcc_lo
	v_cmp_eq_u32_e32 vcc_lo, 0x40f, v40
	v_and_or_b32 v0, 0x8000, v3, v0
	v_cndmask_b32_e32 v2, v30, v12, vcc_lo
	v_cmp_eq_u32_e32 vcc_lo, 0x40f, v42
	v_and_b32_e32 v0, 0xffff, v0
	v_and_or_b32 v2, 0x8000, v13, v2
	v_cndmask_b32_e32 v7, v41, v14, vcc_lo
	v_cmp_eq_u32_e32 vcc_lo, 0x40f, v44
	v_lshl_or_b32 v0, v2, 16, v0
	v_and_or_b32 v3, 0x8000, v15, v7
	v_cndmask_b32_e32 v12, v43, v16, vcc_lo
	v_cmp_eq_u32_e32 vcc_lo, 0x40f, v46
	v_and_b32_e32 v3, 0xffff, v3
	v_and_or_b32 v7, 0x8000, v17, v12
	v_cndmask_b32_e32 v14, v45, v18, vcc_lo
	v_cmp_eq_u32_e32 vcc_lo, 0x40f, v48
	v_lshl_or_b32 v2, v7, 16, v3
	v_and_or_b32 v12, 0x8000, v19, v14
	v_cndmask_b32_e32 v16, v47, v20, vcc_lo
	v_cmp_eq_u32_e32 vcc_lo, 0x40f, v50
	v_and_b32_e32 v12, 0xffff, v12
	v_and_or_b32 v13, 0x8000, v21, v16
	v_cndmask_b32_e32 v18, v49, v22, vcc_lo
	v_cmp_eq_u32_e32 vcc_lo, 0x40f, v52
	v_lshrrev_b32_e32 v16, 16, v27
	v_lshl_or_b32 v3, v13, 16, v12
	global_store_dword v[8:9], v0, off
	global_store_dword v[10:11], v2, off
	;; [unrolled: 1-line block ×3, first 2 shown]
	v_cndmask_b32_e32 v20, v51, v24, vcc_lo
	v_cmp_gt_i32_e32 vcc_lo, 31, v54
	v_sub_nc_u32_e32 v2, 0x3f1, v58
	v_and_or_b32 v14, 0x8000, v23, v18
	v_lshrrev_b32_e32 v9, 16, v1
	v_and_or_b32 v13, 0xffe, v57, v32
	v_cndmask_b32_e32 v7, 0x7c00, v53, vcc_lo
	v_cmp_eq_u32_e32 vcc_lo, 0x40f, v54
	v_med3_i32 v8, v2, 0, 13
	v_mul_f64 v[2:3], v[38:39], s[18:19]
	v_and_or_b32 v15, 0x8000, v25, v20
	v_and_b32_e32 v14, 0xffff, v14
	v_cndmask_b32_e32 v0, v7, v26, vcc_lo
	v_cmp_lt_i32_e32 vcc_lo, 5, v68
	v_lshrrev_b32_e32 v7, 2, v55
	s_waitcnt vmcnt(2)
	v_mul_f16_sdwa v11, v9, v5 dst_sel:DWORD dst_unused:UNUSED_PAD src0_sel:DWORD src1_sel:WORD_1
	v_or_b32_e32 v10, 0x1000, v13
	v_lshl_or_b32 v12, v15, 16, v14
	s_or_b32 vcc_lo, s0, vcc_lo
	v_lshrrev_b32_e32 v18, 16, v29
	v_add_co_ci_u32_e32 v7, vcc_lo, 0, v7, vcc_lo
	v_cmp_ne_u32_e32 vcc_lo, 0, v28
	v_fmac_f16_e32 v11, v1, v5
	v_lshrrev_b32_e32 v15, v8, v10
	v_and_or_b32 v0, 0x8000, v16, v0
	global_store_dword v[36:37], v12, off
	v_cndmask_b32_e64 v14, 0, 1, vcc_lo
	v_cmp_gt_i32_e32 vcc_lo, 31, v56
	v_cvt_f32_f16_e32 v11, v11
	v_lshlrev_b32_e32 v17, v8, v15
	v_and_or_b32 v2, 0x1ff, v3, v2
	v_lshl_or_b32 v14, v14, 9, 0x7c00
	v_cndmask_b32_e32 v7, 0x7c00, v7, vcc_lo
	v_cmp_eq_u32_e32 vcc_lo, 0x40f, v56
	v_bfe_u32 v16, v3, 20, 11
	v_and_b32_e32 v0, 0xffff, v0
	v_cndmask_b32_e32 v14, v7, v14, vcc_lo
	v_cvt_f64_f32_e32 v[7:8], v11
	v_cmp_ne_u32_e32 vcc_lo, v17, v10
	v_add_nc_u32_e32 v17, 0xfffffc10, v58
	v_and_or_b32 v11, 0x8000, v18, v14
	v_mul_f16_sdwa v18, v1, v5 dst_sel:DWORD dst_unused:UNUSED_PAD src0_sel:DWORD src1_sel:WORD_1
	v_cndmask_b32_e64 v10, 0, 1, vcc_lo
	v_cmp_ne_u32_e32 vcc_lo, 0, v2
	v_lshl_or_b32 v14, v17, 12, v13
	v_fma_f16 v5, v5, v9, -v18
	v_or_b32_e32 v10, v15, v10
	v_cndmask_b32_e64 v2, 0, 1, vcc_lo
	v_lshrrev_b32_e32 v15, 8, v3
	v_cmp_gt_i32_e32 vcc_lo, 1, v17
	v_cvt_f32_f16_e32 v5, v5
	v_and_or_b32 v2, 0xffe, v15, v2
	v_cndmask_b32_e32 v10, v14, v10, vcc_lo
	v_sub_nc_u32_e32 v14, 0x3f1, v16
	v_lshl_or_b32 v15, v11, 16, v0
	v_mul_f64 v[7:8], v[7:8], s[18:19]
	v_or_b32_e32 v12, 0x1000, v2
	v_and_b32_e32 v11, 7, v10
	v_med3_i32 v14, v14, 0, 13
	v_add_co_u32 v0, vcc_lo, v36, s17
	v_add_co_ci_u32_e32 v1, vcc_lo, s20, v37, vcc_lo
	v_lshrrev_b32_e32 v19, v14, v12
	v_cmp_lt_i32_e32 vcc_lo, 5, v11
	v_cmp_eq_u32_e64 s0, 3, v11
	v_lshrrev_b32_e32 v9, 2, v10
	v_add_nc_u32_e32 v10, 0x800, v31
	v_lshlrev_b32_e32 v11, v14, v19
	s_or_b32 vcc_lo, s0, vcc_lo
	v_add_co_ci_u32_e32 v14, vcc_lo, 0, v9, vcc_lo
	v_cmp_ne_u32_e32 vcc_lo, v11, v12
	v_cvt_f64_f32_e32 v[11:12], v5
	v_add_nc_u32_e32 v5, 0xfffffc10, v16
	v_and_or_b32 v7, 0x1ff, v8, v7
	ds_read2_b32 v[9:10], v10 offset0:125 offset1:216
	v_cndmask_b32_e64 v18, 0, 1, vcc_lo
	v_cmp_gt_i32_e32 vcc_lo, 31, v17
	v_bfe_u32 v20, v8, 20, 11
	v_or_b32_e32 v16, v19, v18
	v_cndmask_b32_e32 v14, 0x7c00, v14, vcc_lo
	v_cmp_ne_u32_e32 vcc_lo, 0, v7
	v_lshl_or_b32 v18, v5, 12, v2
	v_lshrrev_b32_e32 v19, 8, v8
	v_cndmask_b32_e64 v7, 0, 1, vcc_lo
	v_cmp_ne_u32_e32 vcc_lo, 0, v13
	v_and_or_b32 v7, 0xffe, v19, v7
	v_cndmask_b32_e64 v13, 0, 1, vcc_lo
	v_cmp_gt_i32_e32 vcc_lo, 1, v5
	s_waitcnt lgkmcnt(0)
	v_lshrrev_b32_e32 v19, 16, v9
	v_mul_f64 v[11:12], v[11:12], s[18:19]
	v_or_b32_e32 v22, 0x1000, v7
	v_lshl_or_b32 v13, v13, 9, 0x7c00
	v_cndmask_b32_e32 v16, v18, v16, vcc_lo
	v_sub_nc_u32_e32 v18, 0x3f1, v20
	v_cmp_eq_u32_e32 vcc_lo, 0x40f, v17
	s_waitcnt vmcnt(1)
	v_mul_f16_sdwa v23, v19, v4 dst_sel:DWORD dst_unused:UNUSED_PAD src0_sel:DWORD src1_sel:WORD_1
	v_add_nc_u32_e32 v20, 0xfffffc10, v20
	v_and_b32_e32 v21, 7, v16
	v_med3_i32 v18, v18, 0, 13
	v_cndmask_b32_e32 v13, v14, v13, vcc_lo
	v_lshrrev_b32_e32 v14, 16, v33
	v_fmac_f16_e32 v23, v9, v4
	v_cmp_lt_i32_e32 vcc_lo, 5, v21
	v_lshrrev_b32_e32 v17, v18, v22
	v_cmp_eq_u32_e64 s0, 3, v21
	v_and_or_b32 v21, 0x8000, v14, v13
	v_lshrrev_b32_e32 v13, 2, v16
	v_cvt_f32_f16_e32 v16, v23
	v_lshlrev_b32_e32 v14, v18, v17
	s_or_b32 vcc_lo, s0, vcc_lo
	v_mul_f16_sdwa v9, v9, v4 dst_sel:DWORD dst_unused:UNUSED_PAD src0_sel:DWORD src1_sel:WORD_1
	v_add_co_ci_u32_e32 v18, vcc_lo, 0, v13, vcc_lo
	v_cmp_ne_u32_e32 vcc_lo, v14, v22
	v_cvt_f64_f32_e32 v[13:14], v16
	v_and_or_b32 v11, 0x1ff, v12, v11
	v_fma_f16 v4, v4, v19, -v9
	v_lshrrev_b32_e32 v19, 16, v10
	v_cndmask_b32_e64 v22, 0, 1, vcc_lo
	v_cmp_ne_u32_e32 vcc_lo, 0, v2
	v_cvt_f32_f16_e32 v4, v4
	v_or_b32_e32 v16, v17, v22
	v_cndmask_b32_e64 v2, 0, 1, vcc_lo
	v_cmp_gt_i32_e32 vcc_lo, 31, v5
	v_lshl_or_b32 v17, v20, 12, v7
	v_bfe_u32 v22, v12, 20, 11
	v_lshl_or_b32 v2, v2, 9, 0x7c00
	v_cndmask_b32_e32 v18, 0x7c00, v18, vcc_lo
	v_cmp_gt_i32_e32 vcc_lo, 1, v20
	v_cndmask_b32_e32 v16, v17, v16, vcc_lo
	v_cmp_ne_u32_e32 vcc_lo, 0, v11
	v_lshrrev_b32_e32 v17, 8, v12
	v_and_b32_e32 v23, 7, v16
	v_cndmask_b32_e64 v11, 0, 1, vcc_lo
	v_cmp_eq_u32_e32 vcc_lo, 0x40f, v5
	v_lshrrev_b32_e32 v16, 2, v16
	v_cmp_eq_u32_e64 s0, 3, v23
	v_and_or_b32 v11, 0xffe, v17, v11
	v_sub_nc_u32_e32 v17, 0x3f1, v22
	v_cndmask_b32_e32 v5, v18, v2, vcc_lo
	v_cmp_lt_i32_e32 vcc_lo, 5, v23
	v_lshrrev_b32_e32 v18, 16, v3
	v_mul_f64 v[2:3], v[13:14], s[18:19]
	v_or_b32_e32 v13, 0x1000, v11
	v_med3_i32 v14, v17, 0, 13
	s_or_b32 vcc_lo, s0, vcc_lo
	v_and_or_b32 v5, 0x8000, v18, v5
	v_add_co_ci_u32_e32 v16, vcc_lo, 0, v16, vcc_lo
	v_and_b32_e32 v17, 0xffff, v21
	v_lshrrev_b32_e32 v18, v14, v13
	v_cmp_ne_u32_e32 vcc_lo, 0, v7
	s_waitcnt vmcnt(0)
	v_mul_f16_sdwa v23, v19, v6 dst_sel:DWORD dst_unused:UNUSED_PAD src0_sel:DWORD src1_sel:WORD_1
	v_lshl_or_b32 v17, v5, 16, v17
	v_lshlrev_b32_e32 v5, v14, v18
	v_cndmask_b32_e64 v7, 0, 1, vcc_lo
	v_cmp_gt_i32_e32 vcc_lo, 31, v20
	v_fmac_f16_e32 v23, v10, v6
	v_mul_f16_sdwa v10, v10, v6 dst_sel:DWORD dst_unused:UNUSED_PAD src0_sel:DWORD src1_sel:WORD_1
	v_lshl_or_b32 v7, v7, 9, 0x7c00
	v_cndmask_b32_e32 v14, 0x7c00, v16, vcc_lo
	v_cmp_ne_u32_e32 vcc_lo, v5, v13
	v_and_or_b32 v2, 0x1ff, v3, v2
	v_add_nc_u32_e32 v16, 0xfffffc10, v22
	v_fma_f16 v6, v6, v19, -v10
	v_cndmask_b32_e64 v5, 0, 1, vcc_lo
	v_cmp_eq_u32_e32 vcc_lo, 0x40f, v20
	v_lshl_or_b32 v13, v16, 12, v11
	v_cvt_f32_f16_e32 v6, v6
	v_cndmask_b32_e32 v9, v14, v7, vcc_lo
	v_cmp_ne_u32_e32 vcc_lo, 0, v2
	v_or_b32_e32 v7, v18, v5
	v_lshrrev_b32_e32 v14, 8, v3
	v_bfe_u32 v18, v3, 20, 11
	v_cvt_f64_f32_e32 v[4:5], v4
	v_cndmask_b32_e64 v2, 0, 1, vcc_lo
	v_cmp_gt_i32_e32 vcc_lo, 1, v16
	v_lshrrev_b32_e32 v3, 16, v3
	v_and_or_b32 v2, 0xffe, v14, v2
	v_cndmask_b32_e32 v13, v13, v7, vcc_lo
	v_sub_nc_u32_e32 v7, 0x3f1, v18
	v_lshrrev_b32_e32 v14, 16, v8
	v_add_nc_u32_e32 v18, 0xfffffc10, v18
	v_or_b32_e32 v21, 0x1000, v2
	v_and_b32_e32 v20, 7, v13
	v_med3_i32 v22, v7, 0, 13
	v_add_co_u32 v7, vcc_lo, v0, s17
	v_and_or_b32 v24, 0x8000, v14, v9
	v_add_co_ci_u32_e32 v8, vcc_lo, s20, v1, vcc_lo
	v_lshrrev_b32_e32 v9, v22, v21
	v_cmp_lt_i32_e32 vcc_lo, 5, v20
	v_cmp_eq_u32_e64 s0, 3, v20
	v_lshrrev_b32_e32 v13, 2, v13
	v_cvt_f32_f16_e32 v14, v23
	v_lshlrev_b32_e32 v20, v22, v9
	v_mul_f64 v[4:5], v[4:5], s[18:19]
	s_or_b32 vcc_lo, s0, vcc_lo
	v_add_co_ci_u32_e32 v22, vcc_lo, 0, v13, vcc_lo
	v_cmp_ne_u32_e32 vcc_lo, v20, v21
	v_cvt_f64_f32_e32 v[13:14], v14
	v_cndmask_b32_e64 v20, 0, 1, vcc_lo
	v_cmp_ne_u32_e32 vcc_lo, 0, v11
	v_or_b32_e32 v9, v9, v20
	v_cndmask_b32_e64 v11, 0, 1, vcc_lo
	v_cmp_gt_i32_e32 vcc_lo, 31, v16
	v_lshl_or_b32 v20, v18, 12, v2
	v_lshl_or_b32 v11, v11, 9, 0x7c00
	v_cndmask_b32_e32 v10, 0x7c00, v22, vcc_lo
	v_cmp_gt_i32_e32 vcc_lo, 1, v18
	v_and_or_b32 v4, 0x1ff, v5, v4
	v_cndmask_b32_e32 v19, v20, v9, vcc_lo
	v_cmp_eq_u32_e32 vcc_lo, 0x40f, v16
	v_lshrrev_b32_e32 v20, 16, v12
	v_cndmask_b32_e32 v16, v10, v11, vcc_lo
	v_mul_f64 v[11:12], v[13:14], s[18:19]
	v_cvt_f64_f32_e32 v[9:10], v6
	v_cmp_ne_u32_e32 vcc_lo, 0, v4
	v_and_b32_e32 v6, 7, v19
	v_and_or_b32 v16, 0x8000, v20, v16
	v_and_b32_e32 v20, 0xffff, v24
	v_lshrrev_b32_e32 v13, 8, v5
	v_cndmask_b32_e64 v4, 0, 1, vcc_lo
	v_bfe_u32 v14, v5, 20, 11
	v_cmp_lt_i32_e32 vcc_lo, 5, v6
	v_cmp_eq_u32_e64 s0, 3, v6
	v_lshl_or_b32 v6, v16, 16, v20
	v_lshrrev_b32_e32 v16, 2, v19
	v_and_or_b32 v4, 0xffe, v13, v4
	v_sub_nc_u32_e32 v13, 0x3f1, v14
	s_or_b32 vcc_lo, s0, vcc_lo
	v_add_nc_u32_e32 v14, 0xfffffc10, v14
	v_add_co_ci_u32_e32 v16, vcc_lo, 0, v16, vcc_lo
	v_or_b32_e32 v19, 0x1000, v4
	v_med3_i32 v13, v13, 0, 13
	v_cmp_ne_u32_e32 vcc_lo, 0, v2
	v_and_or_b32 v11, 0x1ff, v12, v11
	v_mul_f64 v[9:10], v[9:10], s[18:19]
	v_lshrrev_b32_e32 v21, 8, v12
	v_lshrrev_b32_e32 v20, v13, v19
	v_cndmask_b32_e64 v2, 0, 1, vcc_lo
	v_cmp_gt_i32_e32 vcc_lo, 31, v18
	v_bfe_u32 v22, v12, 20, 11
	v_lshrrev_b32_e32 v5, 16, v5
	v_lshlrev_b32_e32 v13, v13, v20
	v_lshl_or_b32 v2, v2, 9, 0x7c00
	v_cndmask_b32_e32 v16, 0x7c00, v16, vcc_lo
	v_cmp_ne_u32_e32 vcc_lo, 0, v11
	v_lshrrev_b32_e32 v12, 16, v12
	v_cndmask_b32_e64 v11, 0, 1, vcc_lo
	v_cmp_ne_u32_e32 vcc_lo, v13, v19
	v_sub_nc_u32_e32 v19, 0x3f1, v22
	v_and_or_b32 v11, 0xffe, v21, v11
	v_cndmask_b32_e64 v13, 0, 1, vcc_lo
	v_cmp_eq_u32_e32 vcc_lo, 0x40f, v18
	v_med3_i32 v19, v19, 0, 13
	v_and_or_b32 v9, 0x1ff, v10, v9
	v_or_b32_e32 v18, 0x1000, v11
	v_or_b32_e32 v13, v20, v13
	v_cndmask_b32_e32 v2, v16, v2, vcc_lo
	v_lshl_or_b32 v16, v14, 12, v4
	v_cmp_gt_i32_e32 vcc_lo, 1, v14
	v_lshrrev_b32_e32 v20, 8, v10
	v_bfe_u32 v21, v10, 20, 11
	v_and_or_b32 v2, 0x8000, v3, v2
	v_lshrrev_b32_e32 v10, 16, v10
	v_cndmask_b32_e32 v13, v16, v13, vcc_lo
	v_lshrrev_b32_e32 v16, v19, v18
	v_cmp_ne_u32_e32 vcc_lo, 0, v9
	v_and_b32_e32 v23, 7, v13
	v_lshlrev_b32_e32 v19, v19, v16
	v_cndmask_b32_e64 v9, 0, 1, vcc_lo
	v_lshrrev_b32_e32 v13, 2, v13
	v_cmp_lt_i32_e32 vcc_lo, 5, v23
	v_cmp_ne_u32_e64 s0, v19, v18
	v_and_or_b32 v3, 0xffe, v20, v9
	v_sub_nc_u32_e32 v9, 0x3f1, v21
	v_add_nc_u32_e32 v20, 0xfffffc10, v22
	v_cndmask_b32_e64 v18, 0, 1, s0
	v_cmp_eq_u32_e64 s0, 3, v23
	v_or_b32_e32 v19, 0x1000, v3
	v_med3_i32 v9, v9, 0, 13
	v_lshl_or_b32 v22, v20, 12, v11
	v_or_b32_e32 v16, v16, v18
	s_or_b32 vcc_lo, s0, vcc_lo
	v_add_co_ci_u32_e32 v13, vcc_lo, 0, v13, vcc_lo
	v_lshrrev_b32_e32 v18, v9, v19
	v_cmp_gt_i32_e32 vcc_lo, 1, v20
	v_lshlrev_b32_e32 v9, v9, v18
	v_cndmask_b32_e32 v16, v22, v16, vcc_lo
	v_cmp_ne_u32_e32 vcc_lo, 0, v4
	v_cndmask_b32_e64 v4, 0, 1, vcc_lo
	v_cmp_ne_u32_e32 vcc_lo, v9, v19
	v_add_nc_u32_e32 v19, 0xfffffc10, v21
	v_and_b32_e32 v21, 7, v16
	v_lshl_or_b32 v4, v4, 9, 0x7c00
	v_cndmask_b32_e64 v9, 0, 1, vcc_lo
	v_cmp_gt_i32_e32 vcc_lo, 31, v14
	v_cmp_gt_i32_e64 s1, 1, v19
	v_cmp_eq_u32_e64 s0, 3, v21
	v_or_b32_e32 v9, v18, v9
	v_lshl_or_b32 v18, v19, 12, v3
	v_cndmask_b32_e32 v13, 0x7c00, v13, vcc_lo
	v_cmp_lt_i32_e32 vcc_lo, 5, v21
	v_cndmask_b32_e64 v9, v18, v9, s1
	v_cmp_eq_u32_e64 s1, 0x40f, v14
	s_or_b32 vcc_lo, s0, vcc_lo
	v_and_b32_e32 v14, 7, v9
	v_cndmask_b32_e64 v4, v13, v4, s1
	v_lshrrev_b32_e32 v13, 2, v16
	v_lshrrev_b32_e32 v9, 2, v9
	v_cmp_gt_i32_e64 s1, 31, v20
	v_cmp_eq_u32_e64 s0, 3, v14
	v_and_or_b32 v4, 0x8000, v5, v4
	v_add_co_ci_u32_e32 v13, vcc_lo, 0, v13, vcc_lo
	v_cmp_ne_u32_e32 vcc_lo, 0, v11
	v_and_b32_e32 v5, 0xffff, v2
	v_cndmask_b32_e64 v13, 0x7c00, v13, s1
	v_cndmask_b32_e64 v11, 0, 1, vcc_lo
	v_cmp_lt_i32_e32 vcc_lo, 5, v14
	v_lshl_or_b32 v11, v11, 9, 0x7c00
	s_or_b32 vcc_lo, s0, vcc_lo
	v_add_co_ci_u32_e32 v9, vcc_lo, 0, v9, vcc_lo
	v_cmp_ne_u32_e32 vcc_lo, 0, v3
	v_cndmask_b32_e64 v3, 0, 1, vcc_lo
	v_cmp_eq_u32_e32 vcc_lo, 0x40f, v20
	v_lshl_or_b32 v3, v3, 9, 0x7c00
	v_cndmask_b32_e32 v11, v13, v11, vcc_lo
	v_cmp_gt_i32_e32 vcc_lo, 31, v19
	v_and_or_b32 v11, 0x8000, v12, v11
	v_cndmask_b32_e32 v9, 0x7c00, v9, vcc_lo
	v_cmp_eq_u32_e32 vcc_lo, 0x40f, v19
	v_lshl_or_b32 v12, v4, 16, v5
	v_cndmask_b32_e32 v9, v9, v3, vcc_lo
	v_add_co_u32 v2, vcc_lo, v7, s17
	v_add_co_ci_u32_e32 v3, vcc_lo, s20, v8, vcc_lo
	v_and_or_b32 v9, 0x8000, v10, v9
	v_and_b32_e32 v10, 0xffff, v11
	v_add_co_u32 v4, vcc_lo, v2, s17
	v_add_co_ci_u32_e32 v5, vcc_lo, s20, v3, vcc_lo
	v_lshl_or_b32 v11, v9, 16, v10
	v_add_co_u32 v9, vcc_lo, v4, s17
	v_add_co_ci_u32_e32 v10, vcc_lo, s20, v5, vcc_lo
	global_store_dword v[0:1], v15, off
	global_store_dword v[7:8], v17, off
	global_store_dword v[2:3], v6, off
	global_store_dword v[4:5], v12, off
	global_store_dword v[9:10], v11, off
.LBB0_23:
	s_endpgm
	.section	.rodata,"a",@progbits
	.p2align	6, 0x0
	.amdhsa_kernel bluestein_single_back_len819_dim1_half_op_CI_CI
		.amdhsa_group_segment_fixed_size 3276
		.amdhsa_private_segment_fixed_size 0
		.amdhsa_kernarg_size 104
		.amdhsa_user_sgpr_count 6
		.amdhsa_user_sgpr_private_segment_buffer 1
		.amdhsa_user_sgpr_dispatch_ptr 0
		.amdhsa_user_sgpr_queue_ptr 0
		.amdhsa_user_sgpr_kernarg_segment_ptr 1
		.amdhsa_user_sgpr_dispatch_id 0
		.amdhsa_user_sgpr_flat_scratch_init 0
		.amdhsa_user_sgpr_private_segment_size 0
		.amdhsa_wavefront_size32 1
		.amdhsa_uses_dynamic_stack 0
		.amdhsa_system_sgpr_private_segment_wavefront_offset 0
		.amdhsa_system_sgpr_workgroup_id_x 1
		.amdhsa_system_sgpr_workgroup_id_y 0
		.amdhsa_system_sgpr_workgroup_id_z 0
		.amdhsa_system_sgpr_workgroup_info 0
		.amdhsa_system_vgpr_workitem_id 0
		.amdhsa_next_free_vgpr 172
		.amdhsa_next_free_sgpr 21
		.amdhsa_reserve_vcc 1
		.amdhsa_reserve_flat_scratch 0
		.amdhsa_float_round_mode_32 0
		.amdhsa_float_round_mode_16_64 0
		.amdhsa_float_denorm_mode_32 3
		.amdhsa_float_denorm_mode_16_64 3
		.amdhsa_dx10_clamp 1
		.amdhsa_ieee_mode 1
		.amdhsa_fp16_overflow 0
		.amdhsa_workgroup_processor_mode 1
		.amdhsa_memory_ordered 1
		.amdhsa_forward_progress 0
		.amdhsa_shared_vgpr_count 0
		.amdhsa_exception_fp_ieee_invalid_op 0
		.amdhsa_exception_fp_denorm_src 0
		.amdhsa_exception_fp_ieee_div_zero 0
		.amdhsa_exception_fp_ieee_overflow 0
		.amdhsa_exception_fp_ieee_underflow 0
		.amdhsa_exception_fp_ieee_inexact 0
		.amdhsa_exception_int_div_zero 0
	.end_amdhsa_kernel
	.text
.Lfunc_end0:
	.size	bluestein_single_back_len819_dim1_half_op_CI_CI, .Lfunc_end0-bluestein_single_back_len819_dim1_half_op_CI_CI
                                        ; -- End function
	.section	.AMDGPU.csdata,"",@progbits
; Kernel info:
; codeLenInByte = 17700
; NumSgprs: 23
; NumVgprs: 172
; ScratchSize: 0
; MemoryBound: 0
; FloatMode: 240
; IeeeMode: 1
; LDSByteSize: 3276 bytes/workgroup (compile time only)
; SGPRBlocks: 2
; VGPRBlocks: 21
; NumSGPRsForWavesPerEU: 23
; NumVGPRsForWavesPerEU: 172
; Occupancy: 5
; WaveLimiterHint : 1
; COMPUTE_PGM_RSRC2:SCRATCH_EN: 0
; COMPUTE_PGM_RSRC2:USER_SGPR: 6
; COMPUTE_PGM_RSRC2:TRAP_HANDLER: 0
; COMPUTE_PGM_RSRC2:TGID_X_EN: 1
; COMPUTE_PGM_RSRC2:TGID_Y_EN: 0
; COMPUTE_PGM_RSRC2:TGID_Z_EN: 0
; COMPUTE_PGM_RSRC2:TIDIG_COMP_CNT: 0
	.text
	.p2alignl 6, 3214868480
	.fill 48, 4, 3214868480
	.type	__hip_cuid_dc21868b4875c09c,@object ; @__hip_cuid_dc21868b4875c09c
	.section	.bss,"aw",@nobits
	.globl	__hip_cuid_dc21868b4875c09c
__hip_cuid_dc21868b4875c09c:
	.byte	0                               ; 0x0
	.size	__hip_cuid_dc21868b4875c09c, 1

	.ident	"AMD clang version 19.0.0git (https://github.com/RadeonOpenCompute/llvm-project roc-6.4.0 25133 c7fe45cf4b819c5991fe208aaa96edf142730f1d)"
	.section	".note.GNU-stack","",@progbits
	.addrsig
	.addrsig_sym __hip_cuid_dc21868b4875c09c
	.amdgpu_metadata
---
amdhsa.kernels:
  - .args:
      - .actual_access:  read_only
        .address_space:  global
        .offset:         0
        .size:           8
        .value_kind:     global_buffer
      - .actual_access:  read_only
        .address_space:  global
        .offset:         8
        .size:           8
        .value_kind:     global_buffer
      - .actual_access:  read_only
        .address_space:  global
        .offset:         16
        .size:           8
        .value_kind:     global_buffer
      - .actual_access:  read_only
        .address_space:  global
        .offset:         24
        .size:           8
        .value_kind:     global_buffer
      - .actual_access:  read_only
        .address_space:  global
        .offset:         32
        .size:           8
        .value_kind:     global_buffer
      - .offset:         40
        .size:           8
        .value_kind:     by_value
      - .address_space:  global
        .offset:         48
        .size:           8
        .value_kind:     global_buffer
      - .address_space:  global
        .offset:         56
        .size:           8
        .value_kind:     global_buffer
      - .address_space:  global
        .offset:         64
        .size:           8
        .value_kind:     global_buffer
      - .address_space:  global
        .offset:         72
        .size:           8
        .value_kind:     global_buffer
      - .offset:         80
        .size:           4
        .value_kind:     by_value
      - .address_space:  global
        .offset:         88
        .size:           8
        .value_kind:     global_buffer
      - .address_space:  global
        .offset:         96
        .size:           8
        .value_kind:     global_buffer
    .group_segment_fixed_size: 3276
    .kernarg_segment_align: 8
    .kernarg_segment_size: 104
    .language:       OpenCL C
    .language_version:
      - 2
      - 0
    .max_flat_workgroup_size: 117
    .name:           bluestein_single_back_len819_dim1_half_op_CI_CI
    .private_segment_fixed_size: 0
    .sgpr_count:     23
    .sgpr_spill_count: 0
    .symbol:         bluestein_single_back_len819_dim1_half_op_CI_CI.kd
    .uniform_work_group_size: 1
    .uses_dynamic_stack: false
    .vgpr_count:     172
    .vgpr_spill_count: 0
    .wavefront_size: 32
    .workgroup_processor_mode: 1
amdhsa.target:   amdgcn-amd-amdhsa--gfx1030
amdhsa.version:
  - 1
  - 2
...

	.end_amdgpu_metadata
